;; amdgpu-corpus repo=ROCm/aiter kind=harvested arch=n/a opt=n/a

/root/src/amdgpu-assembly/repos/ROCm__aiter/hsa/gfx942/pa/pa_fp16_pertokenFp8_gqa16_1tg_4w_mtp_msk1.co:	file format elf64-amdgpu

Disassembly of section .text:

0000000000002200 <_ZN5aiter41pa_fp16_pertokenFp8_gqa16_1tg_4w_mtp_msk1E>:
	s_and_b32 s1, s1, 0xffff                                   // 000000002200: 8601FF01 0000FFFF
	s_load_dwordx2 s[8:9], s[0:1], 0x0                         // 000000002208: C0060200 00000000
	s_load_dwordx2 s[12:13], s[0:1], 0x10                      // 000000002210: C0060300 00000010
	s_load_dwordx2 s[16:17], s[0:1], 0x20                      // 000000002218: C0060400 00000020
	s_load_dwordx2 s[20:21], s[0:1], 0x30                      // 000000002220: C0060500 00000030
	s_load_dwordx2 s[24:25], s[0:1], 0x40                      // 000000002228: C0060600 00000040
	s_load_dwordx2 s[28:29], s[0:1], 0x50                      // 000000002230: C0060700 00000050
	s_load_dwordx2 s[32:33], s[0:1], 0x60                      // 000000002238: C0060800 00000060
	s_load_dwordx2 s[36:37], s[0:1], 0x70                      // 000000002240: C0060900 00000070
	s_load_dword s64, s[0:1], 0x80                             // 000000002248: C0021000 00000080
	s_load_dword s65, s[0:1], 0x90                             // 000000002250: C0021040 00000090
	s_load_dword s66, s[0:1], 0xa0                             // 000000002258: C0021080 000000A0
	s_load_dword s74, s[0:1], 0xb0                             // 000000002260: C0021280 000000B0
	s_load_dword s68, s[0:1], 0xc0                             // 000000002268: C0021100 000000C0
	s_load_dword s69, s[0:1], 0xd0                             // 000000002270: C0021140 000000D0
	s_load_dword s77, s[0:1], 0xe0                             // 000000002278: C0021340 000000E0
	s_load_dwordx2 s[80:81], s[0:1], 0xf0                      // 000000002280: C0061400 000000F0
	v_lshrrev_b32_e32 v1, 10, v0                               // 000000002288: 2002008A
	v_lshrrev_b32_e32 v2, 10, v1                               // 00000000228C: 2004028A
	v_and_b32_e32 v2, 0x3ff, v2                                // 000000002290: 260404FF 000003FF
	v_and_b32_e32 v1, 0x3ff, v1                                // 000000002298: 260202FF 000003FF
	v_and_b32_e32 v0, 0x3ff, v0                                // 0000000022A0: 260000FF 000003FF
	v_lshrrev_b32_e32 v3, 6, v0                                // 0000000022A8: 20060086
	v_and_b32_e32 v0, 63, v0                                   // 0000000022AC: 260000BF
	s_mov_b32 s2, s2                                           // 0000000022B0: BE820002
	s_mov_b32 s3, s3                                           // 0000000022B4: BE830003
	s_mov_b32 s4, s4                                           // 0000000022B8: BE840004
	v_readfirstlane_b32 s7, v3                                 // 0000000022BC: 7E0E0503
	s_waitcnt lgkmcnt(0)                                       // 0000000022C0: BF8CC07F
	s_mul_i32 s67, 0x100, s77                                  // 0000000022C4: 92434DFF 00000100
	s_mul_i32 s76, 0x100, s77                                  // 0000000022CC: 924C4DFF 00000100
	s_mul_i32 s75, s66, s76                                    // 0000000022D4: 924B4C42
	s_mul_i32 s60, s3, 4                                       // 0000000022D8: 923C8403
	s_and_b32 s29, s29, 0xffff                                 // 0000000022DC: 861DFF1D 0000FFFF
	s_add_u32 s28, s60, s28                                    // 0000000022E4: 801C1C3C
	s_addc_u32 s29, 0, s29                                     // 0000000022E8: 821D1D80
	s_load_dword s72, s[28:29], 0x0                            // 0000000022EC: C002120E 00000000
	s_mul_i32 s60, s3, 4                                       // 0000000022F4: 923C8403
	s_and_b32 s81, s81, 0xffff                                 // 0000000022F8: 8651FF51 0000FFFF
	s_add_u32 s80, s60, s80                                    // 000000002300: 8050503C
	s_addc_u32 s81, 0, s81                                     // 000000002304: 82515180
	s_load_dword s84, s[80:81], 0x0                            // 000000002308: C0021528 00000000
	s_load_dword s85, s[80:81], 0x4                            // 000000002310: C0021568 00000004
	s_mov_b32 s10, s76                                         // 000000002318: BE8A004C
	s_mov_b32 s14, s67                                         // 00000000231C: BE8E0043
	s_mul_i32 s60, 4, s65                                      // 000000002320: 923C4184
	s_mov_b32 s26, s60                                         // 000000002324: BE9A003C
	s_mov_b32 s34, 0x80000000                                  // 000000002328: BEA200FF 80000000
	s_mov_b32 s38, 0x80000000                                  // 000000002330: BEA600FF 80000000
	s_mov_b32 s18, 0x80000000                                  // 000000002338: BE9200FF 80000000
	s_mov_b32 s22, 0x80000000                                  // 000000002340: BE9600FF 80000000
	s_mov_b32 s11, 0x20000                                     // 000000002348: BE8B00FF 00020000
	s_mov_b32 s15, 0x20000                                     // 000000002350: BE8F00FF 00020000
	s_mov_b32 s19, 0x20000                                     // 000000002358: BE9300FF 00020000
	s_mov_b32 s23, 0x20000                                     // 000000002360: BE9700FF 00020000
	s_mov_b32 s27, 0x20000                                     // 000000002368: BE9B00FF 00020000
	s_mov_b32 s35, 0x20000                                     // 000000002370: BEA300FF 00020000
	s_mov_b32 s39, 0x20000                                     // 000000002378: BEA700FF 00020000
	s_and_b32 s9, s9, 0xffff                                   // 000000002380: 8609FF09 0000FFFF
	s_and_b32 s13, s13, 0xffff                                 // 000000002388: 860DFF0D 0000FFFF
	s_and_b32 s17, s17, 0xffff                                 // 000000002390: 8611FF11 0000FFFF
	s_and_b32 s21, s21, 0xffff                                 // 000000002398: 8615FF15 0000FFFF
	s_and_b32 s25, s25, 0xffff                                 // 0000000023A0: 8619FF19 0000FFFF
	s_and_b32 s33, s33, 0xffff                                 // 0000000023A8: 8621FF21 0000FFFF
	s_and_b32 s37, s37, 0xffff                                 // 0000000023B0: 8625FF25 0000FFFF
	s_or_b32 s9, s9, 0x40000                                   // 0000000023B8: 8709FF09 00040000
	s_or_b32 s13, s13, 0x40000                                 // 0000000023C0: 870DFF0D 00040000
	s_or_b32 s17, s17, 0x40000                                 // 0000000023C8: 8711FF11 00040000
	s_or_b32 s21, s21, 0x40000                                 // 0000000023D0: 8715FF15 00040000
	s_or_b32 s25, s25, 0x40000                                 // 0000000023D8: 8719FF19 00040000
	s_or_b32 s33, s33, 0x40000                                 // 0000000023E0: 8721FF21 00040000
	s_or_b32 s37, s37, 0x40000                                 // 0000000023E8: 8725FF25 00040000
	v_accvgpr_write_b32 a127, 0                                // 0000000023F0: D3D9407F 18000080
	v_mov_b32_e32 v255, 0                                      // 0000000023F8: 7FFE0280
	s_waitcnt lgkmcnt(0)                                       // 0000000023FC: BF8CC07F
	s_sub_u32 s86, s85, s84                                    // 000000002400: 80D65455
	s_mov_b32 s60, 2                                           // 000000002404: BEBC0082
	s_cmp_eq_i32 s60, s86                                      // 000000002408: BF00563C
	s_cbranch_scc1 label_139D                                  // 00000000240C: BF851319
	s_mov_b32 s60, 3                                           // 000000002410: BEBC0083
	s_cmp_eq_i32 s60, s86                                      // 000000002414: BF00563C
	s_cbranch_scc1 label_371F                                  // 000000002418: BF853698
	s_mov_b32 s60, 4                                           // 00000000241C: BEBC0084
	s_cmp_eq_i32 s60, s86                                      // 000000002420: BF00563C
	s_cbranch_scc1 label_6B39                                  // 000000002424: BF856AAF
	s_mul_i32 s60, s3, s65                                     // 000000002428: 923C4103
	s_mul_i32 s60, s60, 4                                      // 00000000242C: 923C843C
	s_add_u32 s24, s60, s24                                    // 000000002430: 8018183C
	s_addc_u32 s25, 0, s25                                     // 000000002434: 82191980
	s_mov_b32 s56, 64                                          // 000000002438: BEB800C0
	s_add_u32 s73, s72, 15                                     // 00000000243C: 80498F48
	s_lshr_b32 s73, s73, 4                                     // 000000002440: 8F498449
	s_mul_i32 s60, s73, 4                                      // 000000002444: 923C8449
	s_mov_b32 s26, s60                                         // 000000002448: BE9A003C
	v_and_b32_e32 v65, 3, v0                                   // 00000000244C: 26820083
	v_cmp_eq_u32_e64 s[60:61], 0, v65                          // 000000002450: D0CA003C 00028280
	v_and_b32_e32 v64, 12, v0                                  // 000000002458: 2680008C
	v_add_u32_e32 v1, s7, v64                                  // 00000000245C: 68028007
	v_cndmask_b32_e64 v1, 0, v1, s[60:61]                      // 000000002460: D1000001 00F20280
	v_and_b32_e32 v65, 3, v0                                   // 000000002468: 26820083
	v_cmp_eq_u32_e64 s[60:61], 1, v65                          // 00000000246C: D0CA003C 00028281
	v_lshrrev_b32_e32 v64, 4, v0                               // 000000002474: 20800084
	v_and_b32_e32 v65, 12, v0                                  // 000000002478: 2682008C
	v_add_u32_e32 v64, v65, v64                                // 00000000247C: 68808141
	v_cndmask_b32_e64 v64, 0, v64, s[60:61]                    // 000000002480: D1000040 00F28080
	v_add_u32_e32 v1, v1, v64                                  // 000000002488: 68028101
	v_lshlrev_b32_e32 v1, 2, v1                                // 00000000248C: 24020282
	buffer_load_dword v16, v1, s[24:27], 0 offen               // 000000002490: E0501000 80061001
	v_add_u32_e32 v1, s56, v1                                  // 000000002498: 68020238
	buffer_load_dword v17, v1, s[24:27], 0 offen               // 00000000249C: E0501000 80061101
	s_cmp_le_u32 s73, 32                                       // 0000000024A4: BF0BA049
	s_cselect_b32 s56, 0, s56                                  // 0000000024A8: 85383880
	s_mul_i32 s60, s2, s67                                     // 0000000024AC: 923C4302
	s_mul_i32 s61, s84, s74                                    // 0000000024B0: 923D4A54
	s_add_u32 s60, s60, s61                                    // 0000000024B4: 803C3D3C
	s_add_u32 s12, s60, s12                                    // 0000000024B8: 800C0C3C
	s_addc_u32 s13, 0, s13                                     // 0000000024BC: 820D0D80
	s_mul_i32 s60, s7, 0x108                                   // 0000000024C0: 923CFF07 00000108
	s_add_u32 m0, 0, s60                                       // 0000000024C8: 807C3C80
	s_mul_i32 s60, s7, 0x100                                   // 0000000024CC: 923CFF07 00000100
	v_lshlrev_b32_e32 v64, 2, v0                               // 0000000024D4: 24800082
	v_add_u32_e64 v64, v64, s60                                // 0000000024D8: D1340040 00007940
	buffer_load_dword v64, s[12:15], 0 offen lds               // 0000000024E0: E0511000 80030040
	s_mul_i32 s60, 4, 0x108                                    // 0000000024E8: 923CFF84 00000108
	s_add_u32 m0, m0, s60                                      // 0000000024F0: 807C3C7C
	v_add_u32_e32 v64, 0x400, v64                              // 0000000024F4: 688080FF 00000400
	buffer_load_dword v64, s[12:15], 0 offen lds               // 0000000024FC: E0511000 80030040
	s_mul_i32 s60, 4, 0x108                                    // 000000002504: 923CFF84 00000108
	s_add_u32 m0, m0, s60                                      // 00000000250C: 807C3C7C
	v_add_u32_e32 v64, 0x400, v64                              // 000000002510: 688080FF 00000400
	buffer_load_dword v64, s[12:15], 0 offen lds               // 000000002518: E0511000 80030040
	s_mul_i32 s60, 4, 0x108                                    // 000000002520: 923CFF84 00000108
	s_add_u32 m0, m0, s60                                      // 000000002528: 807C3C7C
	v_add_u32_e32 v64, 0x400, v64                              // 00000000252C: 688080FF 00000400
	buffer_load_dword v64, s[12:15], 0 offen lds               // 000000002534: E0511000 80030040
	s_mul_i32 s60, 4, 0x108                                    // 00000000253C: 923CFF84 00000108
	s_add_u32 m0, m0, s60                                      // 000000002544: 807C3C7C
	v_add_u32_e32 v64, 0x400, v64                              // 000000002548: 688080FF 00000400
	v_lshrrev_b32_e32 v64, 4, v0                               // 000000002550: 20800084
	v_lshlrev_b32_e32 v64, 2, v64                              // 000000002554: 24808082
	v_and_b32_e32 v65, 3, v0                                   // 000000002558: 26820083
	v_add_u32_e32 v64, v65, v64                                // 00000000255C: 68808141
	v_lshlrev_b32_e32 v59, 2, v64                              // 000000002560: 24768082
	v_mov_b32_e32 v60, v59                                     // 000000002564: 7E78033B
	s_mul_i32 s60, s2, 64                                      // 000000002568: 923CC002
	s_add_u32 s32, s60, s32                                    // 00000000256C: 8020203C
	s_addc_u32 s33, 0, s33                                     // 000000002570: 82212180
	s_add_u32 s36, s60, s36                                    // 000000002574: 8024243C
	s_addc_u32 s37, 0, s37                                     // 000000002578: 82252580
	s_mul_i32 s60, s2, s76                                     // 00000000257C: 923C4C02
	s_mul_i32 s61, s84, s75                                    // 000000002580: 923D4B54
	s_add_u32 s60, s60, s61                                    // 000000002584: 803C3D3C
	s_add_u32 s8, s60, s8                                      // 000000002588: 8008083C
	s_addc_u32 s9, 0, s9                                       // 00000000258C: 82090980
	s_mov_b32 s70, 0                                           // 000000002590: BEC60080
	s_and_b32 s71, s72, 0xffffff00                             // 000000002594: 8647FF48 FFFFFF00
	s_mov_b32 s42, 0xff00ff00                                  // 00000000259C: BEAA00FF FF00FF00
	s_mov_b32 s43, 0xff00ff00                                  // 0000000025A4: BEAB00FF FF00FF00
	s_mov_b32 s44, 0xf0f0f0f0                                  // 0000000025AC: BEAC00FF F0F0F0F0
	s_mov_b32 s45, 0xf0f0f0f0                                  // 0000000025B4: BEAD00FF F0F0F0F0
	s_mov_b32 s78, 0xff00ff                                    // 0000000025BC: BECE00FF 00FF00FF
	s_mov_b32 s79, 0xff00ff                                    // 0000000025C4: BECF00FF 00FF00FF
	v_mul_i32_i24_e64 v63, 64, s66                             // 0000000025CC: D106003F 000084C0
	v_mov_b32_e32 v54, s68                                     // 0000000025D4: 7E6C0244
	s_mov_b32 s52, 0x7060302                                   // 0000000025D8: BEB400FF 07060302
	s_mov_b32 s53, 0x400                                       // 0000000025E0: BEB500FF 00000400
	s_mov_b32 s54, 0x40100                                     // 0000000025E8: BEB600FF 00040100
	s_mov_b32 s55, 0x4020100                                   // 0000000025F0: BEB700FF 04020100
	s_mov_b32 s6, 0x3fb8aa3b                                   // 0000000025F8: BE8600FF 3FB8AA3B
	v_mov_b32_e32 v11, 0xff800000                              // 000000002600: 7E1602FF FF800000
	v_mov_b32_e32 v49, 0                                       // 000000002608: 7E620280
	v_mov_b32_e32 v38, 0                                       // 00000000260C: 7E4C0280
	v_mov_b32_e32 v44, 0                                       // 000000002610: 7E580280
	v_add_u32_e32 v1, s56, v1                                  // 000000002614: 68020238
	v_and_b32_e32 v7, 15, v0                                   // 000000002618: 260E008F
	v_lshlrev_b32_e32 v7, 2, v7                                // 00000000261C: 240E0E82
	v_lshlrev_b32_e32 v8, 2, v0                                // 000000002620: 24100082
	s_mul_i32 s60, 0x100, s7                                   // 000000002624: 923C07FF 00000100
	v_add_u32_e32 v8, s60, v8                                  // 00000000262C: 6810103C
	v_lshrrev_b32_e32 v64, 4, v0                               // 000000002630: 20800084
	v_lshlrev_b32_e32 v65, 6, v64                              // 000000002634: 24828086
	v_and_b32_e32 v64, 15, v0                                  // 000000002638: 2680008F
	v_lshlrev_b32_e32 v64, 1, v64                              // 00000000263C: 24808081
	v_add_u32_e32 v65, v64, v65                                // 000000002640: 68828340
	v_lshlrev_b32_e32 v9, 2, v65                               // 000000002644: 24128282
	v_lshrrev_b32_e32 v64, 5, v0                               // 000000002648: 20800085
	v_lshlrev_b32_e32 v65, 5, v64                              // 00000000264C: 24828085
	v_and_b32_e32 v64, 31, v0                                  // 000000002650: 2680009F
	v_lshrrev_b32_e32 v66, 4, v64                              // 000000002654: 20848084
	v_add_u32_e32 v65, v66, v65                                // 000000002658: 68828342
	v_and_b32_e32 v64, 15, v0                                  // 00000000265C: 2680008F
	v_lshlrev_b32_e32 v64, 1, v64                              // 000000002660: 24808081
	v_add_u32_e32 v65, v64, v65                                // 000000002664: 68828340
	v_lshlrev_b32_e32 v64, 2, v65                              // 000000002668: 24808282
	s_mul_i32 s60, 0x100, s7                                   // 00000000266C: 923C07FF 00000100
	v_add_u32_e64 v10, v64, s60                                // 000000002674: D134000A 00007940
	v_lshlrev_b32_e32 v5, 4, v0                                // 00000000267C: 240A0084
	s_mul_i32 s60, s2, s69                                     // 000000002680: 923C4502
	s_add_u32 s16, s60, s16                                    // 000000002684: 8010103C
	s_addc_u32 s17, 0, s17                                     // 000000002688: 82111180
	v_and_b32_e32 v64, 15, v0                                  // 00000000268C: 2680008F
	v_lshlrev_b32_e32 v6, 4, v64                               // 000000002690: 240C8084
	s_mul_i32 s61, s2, s69                                     // 000000002694: 923D4502
	s_mul_i32 s60, s7, 0x100                                   // 000000002698: 923CFF07 00000100
	s_add_u32 s60, s60, s61                                    // 0000000026A0: 803C3D3C
	s_add_u32 s20, s60, s20                                    // 0000000026A4: 8014143C
	s_addc_u32 s21, 0, s21                                     // 0000000026A8: 82151580
	s_waitcnt vmcnt(4)                                         // 0000000026AC: BF8C0F74
	v_mul_u32_u24_dpp v64, v16, v54 row_newbcast:0 row_mask:0xf bank_mask:0xf// 0000000026B0: 10806CFA FF015010
	v_mul_u32_u24_dpp v65, v16, v54 row_newbcast:4 row_mask:0xf bank_mask:0xf// 0000000026B8: 10826CFA FF015410
	v_mul_u32_u24_dpp v66, v16, v54 row_newbcast:8 row_mask:0xf bank_mask:0xf// 0000000026C0: 10846CFA FF015810
	v_mul_u32_u24_dpp v67, v16, v54 row_newbcast:12 row_mask:0xf bank_mask:0xf// 0000000026C8: 10866CFA FF015C10
	v_add_u32_e32 v22, v64, v5                                 // 0000000026D0: 682C0B40
	v_add_u32_e32 v23, v65, v5                                 // 0000000026D4: 682E0B41
	v_add_u32_e32 v24, v66, v5                                 // 0000000026D8: 68300B42
	v_add_u32_e32 v25, v67, v5                                 // 0000000026DC: 68320B43
	v_mul_u32_u24_dpp v64, v16, v54 row_newbcast:1 row_mask:0xf bank_mask:0xf// 0000000026E0: 10806CFA FF015110
	v_mul_u32_u24_dpp v65, v16, v54 row_newbcast:5 row_mask:0xf bank_mask:0xf// 0000000026E8: 10826CFA FF015510
	v_mul_u32_u24_dpp v66, v16, v54 row_newbcast:9 row_mask:0xf bank_mask:0xf// 0000000026F0: 10846CFA FF015910
	v_mul_u32_u24_dpp v67, v16, v54 row_newbcast:13 row_mask:0xf bank_mask:0xf// 0000000026F8: 10866CFA FF015D10
	v_add_u32_e32 v30, v64, v6                                 // 000000002700: 683C0D40
	v_add_u32_e32 v31, v65, v6                                 // 000000002704: 683E0D41
	v_add_u32_e32 v32, v66, v6                                 // 000000002708: 68400D42
	v_add_u32_e32 v33, v67, v6                                 // 00000000270C: 68420D43
	v_mul_u32_u24_dpp v64, v16, v63 quad_perm:[0,0,0,0] row_mask:0xf bank_mask:0xf// 000000002710: 10807EFA FF000010
	v_add_u32_e32 v2, v64, v59                                 // 000000002718: 68047740
	v_mul_u32_u24_dpp v64, v16, v63 quad_perm:[0,0,0,0] row_mask:0xf bank_mask:0xf// 00000000271C: 10807EFA FF000010
	v_add_u32_e32 v55, v64, v60                                // 000000002724: 686E7940
	buffer_load_dword v42, v2, s[32:35], 0 offen               // 000000002728: E0501000 80082A02
	buffer_load_dwordx4 a[0:3], v22, s[16:19], 0 offen         // 000000002730: E05C1000 80840016
	buffer_load_dwordx4 a[4:7], v22, s[16:19], 0 offen offset:1024// 000000002738: E05C1400 80840416
	buffer_load_dwordx4 a[8:11], v23, s[16:19], 0 offen        // 000000002740: E05C1000 80840817
	buffer_load_dwordx4 a[12:15], v23, s[16:19], 0 offen offset:1024// 000000002748: E05C1400 80840C17
	buffer_load_dwordx4 a[16:19], v24, s[16:19], 0 offen       // 000000002750: E05C1000 80841018
	buffer_load_dwordx4 a[20:23], v24, s[16:19], 0 offen offset:1024// 000000002758: E05C1400 80841418
	buffer_load_dwordx4 a[24:27], v25, s[16:19], 0 offen       // 000000002760: E05C1000 80841819
	buffer_load_dwordx4 a[28:31], v25, s[16:19], 0 offen offset:1024// 000000002768: E05C1400 80841C19
	buffer_load_dword v57, v55, s[36:39], 0 offen              // 000000002770: E0501000 80093937
	buffer_load_dwordx4 a[64:67], v30, s[20:23], 0 offen       // 000000002778: E05C1000 8085401E
	buffer_load_dwordx4 a[68:71], v31, s[20:23], 0 offen       // 000000002780: E05C1000 8085441F
	buffer_load_dwordx4 a[72:75], v32, s[20:23], 0 offen       // 000000002788: E05C1000 80854820
	buffer_load_dwordx4 a[76:79], v33, s[20:23], 0 offen       // 000000002790: E05C1000 80854C21
	buffer_load_dwordx4 a[80:83], v30, s[20:23], 0 offen offset:1024// 000000002798: E05C1400 8085501E
	buffer_load_dwordx4 a[84:87], v31, s[20:23], 0 offen offset:1024// 0000000027A0: E05C1400 8085541F
	buffer_load_dwordx4 a[88:91], v32, s[20:23], 0 offen offset:1024// 0000000027A8: E05C1400 80855820
	buffer_load_dwordx4 a[92:95], v33, s[20:23], 0 offen offset:1024// 0000000027B0: E05C1400 80855C21
	v_lshrrev_b32_e32 v64, 4, v0                               // 0000000027B8: 20800084
	v_lshlrev_b32_e32 v65, 1, v64                              // 0000000027BC: 24828081
	v_and_b32_e32 v64, 15, v0                                  // 0000000027C0: 2680008F
	v_mul_i32_i24_e32 v64, 0x42, v64                           // 0000000027C4: 0C8080FF 00000042
	v_add_u32_e32 v65, v64, v65                                // 0000000027CC: 68828340
	v_lshlrev_b32_e32 v4, 2, v65                               // 0000000027D0: 24088282
	s_mul_i32 s60, s7, 32                                      // 0000000027D4: 923CA007
	v_add_u32_e32 v4, s60, v4                                  // 0000000027D8: 6808083C
	s_waitcnt vmcnt(16) lgkmcnt(0)                             // 0000000027DC: BF8C4070
	s_barrier                                                  // 0000000027E0: BF8A0000
	ds_read_b64 v[80:81], v4                                   // 0000000027E4: D8EC0000 50000004
	ds_read_b64 v[84:85], v4 offset:128                        // 0000000027EC: D8EC0080 54000004
	s_waitcnt lgkmcnt(0)                                       // 0000000027F4: BF8CC07F
	v_and_b32_e32 v64, 0xffff, v80                             // 0000000027F8: 2680A0FF 0000FFFF
	v_lshrrev_b32_e32 v65, 16, v80                             // 000000002800: 2082A090
	v_and_b32_e32 v66, 0xffff, v81                             // 000000002804: 2684A2FF 0000FFFF
	v_lshrrev_b32_e32 v67, 16, v81                             // 00000000280C: 2086A290
	v_cvt_f32_f16_e32 v80, v64                                 // 000000002810: 7EA01740
	v_cvt_f32_f16_e32 v81, v65                                 // 000000002814: 7EA21741
	v_cvt_f32_f16_e32 v82, v66                                 // 000000002818: 7EA41742
	v_cvt_f32_f16_e32 v83, v67                                 // 00000000281C: 7EA61743
	v_and_b32_e32 v64, 0xffff, v84                             // 000000002820: 2680A8FF 0000FFFF
	v_lshrrev_b32_e32 v65, 16, v84                             // 000000002828: 2082A890
	v_and_b32_e32 v66, 0xffff, v85                             // 00000000282C: 2684AAFF 0000FFFF
	v_lshrrev_b32_e32 v67, 16, v85                             // 000000002834: 2086AA90
	v_cvt_f32_f16_e32 v84, v64                                 // 000000002838: 7EA81740
	v_cvt_f32_f16_e32 v85, v65                                 // 00000000283C: 7EAA1741
	v_cvt_f32_f16_e32 v86, v66                                 // 000000002840: 7EAC1742
	v_cvt_f32_f16_e32 v87, v67                                 // 000000002844: 7EAE1743
	v_mov_b32_e32 v48, 0x358637bd                              // 000000002848: 7E6002FF 358637BD
	v_max3_f32 v48, |v80|, |v81|, v48                          // 000000002850: D1D30330 04C2A350
	v_max3_f32 v48, |v82|, |v83|, v48                          // 000000002858: D1D30330 04C2A752
	v_max3_f32 v48, |v84|, |v85|, v48                          // 000000002860: D1D30330 04C2AB54
	v_max3_f32 v48, |v86|, |v87|, v48                          // 000000002868: D1D30330 04C2AF56
	ds_write_b32 v8, v48 offset:16896                          // 000000002870: D81A4200 00003008
	s_waitcnt lgkmcnt(0)                                       // 000000002878: BF8CC07F
	s_barrier                                                  // 00000000287C: BF8A0000
	ds_read_b32 v64, v7 offset:16896                           // 000000002880: D86C4200 40000007
	ds_read_b32 v65, v7 offset:16960                           // 000000002888: D86C4240 41000007
	ds_read_b32 v66, v7 offset:17024                           // 000000002890: D86C4280 42000007
	ds_read_b32 v67, v7 offset:17088                           // 000000002898: D86C42C0 43000007
	ds_read_b32 v68, v7 offset:17152                           // 0000000028A0: D86C4300 44000007
	ds_read_b32 v69, v7 offset:17216                           // 0000000028A8: D86C4340 45000007
	ds_read_b32 v70, v7 offset:17280                           // 0000000028B0: D86C4380 46000007
	ds_read_b32 v71, v7 offset:17344                           // 0000000028B8: D86C43C0 47000007
	ds_read_b32 v72, v7 offset:17408                           // 0000000028C0: D86C4400 48000007
	ds_read_b32 v73, v7 offset:17472                           // 0000000028C8: D86C4440 49000007
	ds_read_b32 v74, v7 offset:17536                           // 0000000028D0: D86C4480 4A000007
	ds_read_b32 v75, v7 offset:17600                           // 0000000028D8: D86C44C0 4B000007
	ds_read_b32 v76, v7 offset:17664                           // 0000000028E0: D86C4500 4C000007
	ds_read_b32 v77, v7 offset:17728                           // 0000000028E8: D86C4540 4D000007
	ds_read_b32 v78, v7 offset:17792                           // 0000000028F0: D86C4580 4E000007
	ds_read_b32 v79, v7 offset:17856                           // 0000000028F8: D86C45C0 4F000007
	s_waitcnt lgkmcnt(0)                                       // 000000002900: BF8CC07F
	v_max3_f32 v48, |v64|, |v65|, v48                          // 000000002904: D1D30330 04C28340
	v_max3_f32 v48, |v66|, |v67|, v48                          // 00000000290C: D1D30330 04C28742
	v_max3_f32 v48, |v68|, |v69|, v48                          // 000000002914: D1D30330 04C28B44
	v_max3_f32 v48, |v70|, |v71|, v48                          // 00000000291C: D1D30330 04C28F46
	v_max3_f32 v48, |v72|, |v73|, v48                          // 000000002924: D1D30330 04C29348
	v_max3_f32 v48, |v74|, |v75|, v48                          // 00000000292C: D1D30330 04C2974A
	v_max3_f32 v48, |v76|, |v77|, v48                          // 000000002934: D1D30330 04C29B4C
	v_max3_f32 v48, |v78|, |v79|, v48                          // 00000000293C: D1D30330 04C29F4E
	v_rcp_f32_e32 v48, v48                                     // 000000002944: 7E604530
	s_nop 1                                                    // 000000002948: BF800001
	v_mul_f32_e32 v48, 0x43700000, v48                         // 00000000294C: 0A6060FF 43700000
	v_mul_f32_e32 v80, v48, v80                                // 000000002954: 0AA0A130
	v_mul_f32_e32 v81, v48, v81                                // 000000002958: 0AA2A330
	v_mul_f32_e32 v82, v48, v82                                // 00000000295C: 0AA4A530
	v_mul_f32_e32 v83, v48, v83                                // 000000002960: 0AA6A730
	v_mul_f32_e32 v84, v48, v84                                // 000000002964: 0AA8A930
	v_mul_f32_e32 v85, v48, v85                                // 000000002968: 0AAAAB30
	v_mul_f32_e32 v86, v48, v86                                // 00000000296C: 0AACAD30
	v_mul_f32_e32 v87, v48, v87                                // 000000002970: 0AAEAF30
	v_rcp_f32_e32 v18, v48                                     // 000000002974: 7E244530
	v_cvt_pk_fp8_f32 v80, v80, v81                             // 000000002978: D2A20050 0002A350
	v_cvt_pk_fp8_f32 v80, v82, v83 op_sel:[0,0,1]              // 000000002980: D2A24050 0002A752
	v_cvt_pk_fp8_f32 v81, v84, v85                             // 000000002988: D2A20051 0002AB54
	v_cvt_pk_fp8_f32 v81, v86, v87 op_sel:[0,0,1]              // 000000002990: D2A24051 0002AF56
	ds_write_b32 v10, v80 offset:25088                         // 000000002998: D81A6200 0000500A
	ds_write_b32 v10, v81 offset:26112                         // 0000000029A0: D81A6600 0000510A
	s_waitcnt lgkmcnt(0)                                       // 0000000029A8: BF8CC07F
	s_barrier                                                  // 0000000029AC: BF8A0000
	ds_read_b64 v[80:81], v9 offset:25088                      // 0000000029B0: D8EC6200 50000009
	ds_read_b64 v[82:83], v9 offset:25216                      // 0000000029B8: D8EC6280 52000009
	ds_read_b64 v[84:85], v9 offset:26112                      // 0000000029C0: D8EC6600 54000009
	ds_read_b64 v[86:87], v9 offset:26240                      // 0000000029C8: D8EC6680 56000009
	v_mov_b32_e32 v208, 0                                      // 0000000029D0: 7FA00280
	v_mov_b32_e32 v209, 0                                      // 0000000029D4: 7FA20280
	v_mov_b32_e32 v210, 0                                      // 0000000029D8: 7FA40280
	v_mov_b32_e32 v211, 0                                      // 0000000029DC: 7FA60280
	v_mov_b32_e32 v212, 0                                      // 0000000029E0: 7FA80280
	v_mov_b32_e32 v213, 0                                      // 0000000029E4: 7FAA0280
	v_mov_b32_e32 v214, 0                                      // 0000000029E8: 7FAC0280
	v_mov_b32_e32 v215, 0                                      // 0000000029EC: 7FAE0280
	v_mov_b32_e32 v176, 0                                      // 0000000029F0: 7F600280
	v_mov_b32_e32 v177, 0                                      // 0000000029F4: 7F620280
	v_mov_b32_e32 v178, 0                                      // 0000000029F8: 7F640280
	v_mov_b32_e32 v179, 0                                      // 0000000029FC: 7F660280
	v_mov_b32_e32 v180, 0                                      // 000000002A00: 7F680280
	v_mov_b32_e32 v181, 0                                      // 000000002A04: 7F6A0280
	v_mov_b32_e32 v182, 0                                      // 000000002A08: 7F6C0280
	v_mov_b32_e32 v183, 0                                      // 000000002A0C: 7F6E0280
	s_waitcnt vmcnt(8) lgkmcnt(0)                              // 000000002A10: BF8C0078
	s_barrier                                                  // 000000002A14: BF8A0000
	s_cmp_lt_u32 s73, 16                                       // 000000002A18: BF0A9049
	s_cbranch_scc1 label_0D17                                  // 000000002A1C: BF850B0F
	s_cmp_lt_i32 s7, 2                                         // 000000002A20: BF048207
	s_cbranch_scc0 label_0792                                  // 000000002A24: BF840588

0000000000002a28 <label_020A>:
	s_waitcnt vmcnt(8) lgkmcnt(0)                              // 000000002A28: BF8C0078
	v_mul_u32_u24_dpp v64, v17, v54 row_newbcast:0 row_mask:0xf bank_mask:0xf// 000000002A2C: 10806CFA FF015011
	v_mul_u32_u24_dpp v65, v17, v54 row_newbcast:4 row_mask:0xf bank_mask:0xf// 000000002A34: 10826CFA FF015411
	v_mul_u32_u24_dpp v66, v17, v54 row_newbcast:8 row_mask:0xf bank_mask:0xf// 000000002A3C: 10846CFA FF015811
	v_mul_u32_u24_dpp v67, v17, v54 row_newbcast:12 row_mask:0xf bank_mask:0xf// 000000002A44: 10866CFA FF015C11
	v_add_u32_e32 v26, v64, v5                                 // 000000002A4C: 68340B40
	v_add_u32_e32 v27, v65, v5                                 // 000000002A50: 68360B41
	v_add_u32_e32 v28, v66, v5                                 // 000000002A54: 68380B42
	v_add_u32_e32 v29, v67, v5                                 // 000000002A58: 683A0B43
	v_mul_u32_u24_dpp v64, v17, v63 quad_perm:[0,0,0,0] row_mask:0xf bank_mask:0xf// 000000002A5C: 10807EFA FF000011
	v_add_u32_e32 v3, v64, v59                                 // 000000002A64: 68067740
	v_mul_u32_u24_dpp v64, v17, v63 quad_perm:[0,0,0,0] row_mask:0xf bank_mask:0xf// 000000002A68: 10807EFA FF000011
	v_add_u32_e32 v56, v64, v60                                // 000000002A70: 68707940
	v_mfma_f32_16x16x32_fp8_fp8 v[112:115], a[0:1], v[80:81], 0// 000000002A74: D3F30070 0A02A100
	v_mfma_f32_16x16x32_fp8_fp8 v[112:115], a[2:3], v[82:83], v[112:115]// 000000002A7C: D3F30070 0DC2A502
	buffer_load_dwordx4 a[32:35], v26, s[16:19], 0 offen       // 000000002A84: E05C1000 8084201A
	v_mfma_f32_16x16x32_fp8_fp8 v[112:115], a[4:5], v[84:85], v[112:115]// 000000002A8C: D3F30070 0DC2A904
	v_mfma_f32_16x16x32_fp8_fp8 v[112:115], a[6:7], v[86:87], v[112:115]// 000000002A94: D3F30070 0DC2AD06
	buffer_load_dword v16, v1, s[24:27], 0 offen               // 000000002A9C: E0501000 80061001
	v_mfma_f32_16x16x32_fp8_fp8 v[116:119], a[8:9], v[80:81], 0// 000000002AA4: D3F30074 0A02A108
	v_mfma_f32_16x16x32_fp8_fp8 v[116:119], a[10:11], v[82:83], v[116:119]// 000000002AAC: D3F30074 0DD2A50A
	buffer_load_dwordx4 a[36:39], v26, s[16:19], 0 offen offset:1024// 000000002AB4: E05C1400 8084241A
	v_mfma_f32_16x16x32_fp8_fp8 v[116:119], a[12:13], v[84:85], v[116:119]// 000000002ABC: D3F30074 0DD2A90C
	v_mfma_f32_16x16x32_fp8_fp8 v[116:119], a[14:15], v[86:87], v[116:119]// 000000002AC4: D3F30074 0DD2AD0E
	v_mfma_f32_16x16x32_fp8_fp8 v[120:123], a[16:17], v[80:81], 0// 000000002ACC: D3F30078 0A02A110
	v_mfma_f32_16x16x32_fp8_fp8 v[120:123], a[18:19], v[82:83], v[120:123]// 000000002AD4: D3F30078 0DE2A512
	buffer_load_dwordx4 a[40:43], v27, s[16:19], 0 offen       // 000000002ADC: E05C1000 8084281B
	v_mfma_f32_16x16x32_fp8_fp8 v[120:123], a[20:21], v[84:85], v[120:123]// 000000002AE4: D3F30078 0DE2A914
	v_mfma_f32_16x16x32_fp8_fp8 v[120:123], a[22:23], v[86:87], v[120:123]// 000000002AEC: D3F30078 0DE2AD16
	v_mfma_f32_16x16x32_fp8_fp8 v[124:127], a[24:25], v[80:81], 0// 000000002AF4: D3F3007C 0A02A118
	v_mfma_f32_16x16x32_fp8_fp8 v[124:127], a[26:27], v[82:83], v[124:127]// 000000002AFC: D3F3007C 0DF2A51A
	buffer_load_dwordx4 a[44:47], v27, s[16:19], 0 offen offset:1024// 000000002B04: E05C1400 80842C1B
	v_mfma_f32_16x16x32_fp8_fp8 v[124:127], a[28:29], v[84:85], v[124:127]// 000000002B0C: D3F3007C 0DF2A91C
	v_mfma_f32_16x16x32_fp8_fp8 v[124:127], a[30:31], v[86:87], v[124:127]// 000000002B14: D3F3007C 0DF2AD1E
	buffer_load_dword v43, v3, s[32:35], 0 offen               // 000000002B1C: E0501000 80082B03
	v_mov_b32_dpp v64, v42 row_shr:4 row_mask:0xf bank_mask:0xf// 000000002B24: 7E8002FA FF01142A
	v_mov_b32_dpp v65, v42 row_shl:4 row_mask:0xf bank_mask:0xf// 000000002B2C: 7E8202FA FF01042A
	v_cndmask_b32_e64 v248, v42, v64, s[44:45]                 // 000000002B34: D10000F8 00B2812A
	v_cndmask_b32_e64 v249, v65, v42, s[44:45]                 // 000000002B3C: D10000F9 00B25541
	v_mov_b32_dpp v64, v248 row_shr:8 row_mask:0xf bank_mask:0xf// 000000002B44: 7E8002FA FF0118F8
	v_mov_b32_dpp v65, v248 row_shl:8 row_mask:0xf bank_mask:0xf// 000000002B4C: 7E8202FA FF0108F8
	v_mov_b32_dpp v66, v249 row_shr:8 row_mask:0xf bank_mask:0xf// 000000002B54: 7E8402FA FF0118F9
	v_mov_b32_dpp v67, v249 row_shl:8 row_mask:0xf bank_mask:0xf// 000000002B5C: 7E8602FA FF0108F9
	v_mov_b32_e32 v68, v248                                    // 000000002B64: 7E8803F8
	v_mov_b32_e32 v69, v249                                    // 000000002B68: 7E8A03F9
	v_cndmask_b32_e64 v248, v68, v64, s[42:43]                 // 000000002B6C: D10000F8 00AA8144
	v_cndmask_b32_e64 v250, v68, v65, s[78:79]                 // 000000002B74: D10000FA 013A8344
	v_cndmask_b32_e64 v249, v69, v66, s[42:43]                 // 000000002B7C: D10000F9 00AA8545
	v_cndmask_b32_e64 v251, v69, v67, s[78:79]                 // 000000002B84: D10000FB 013A8745
	v_mov_b32_dpp v64, v57 row_shr:4 row_mask:0xf bank_mask:0xf// 000000002B8C: 7E8002FA FF011439
	v_mov_b32_dpp v65, v57 row_shl:4 row_mask:0xf bank_mask:0xf// 000000002B94: 7E8202FA FF010439
	v_cndmask_b32_e64 v252, v57, v64, s[44:45]                 // 000000002B9C: D10000FC 00B28139
	v_cndmask_b32_e64 v253, v65, v57, s[44:45]                 // 000000002BA4: D10000FD 00B27341
	v_mov_b32_dpp v64, v252 row_shr:8 row_mask:0xf bank_mask:0xf// 000000002BAC: 7E8002FA FF0118FC
	v_mov_b32_dpp v65, v252 row_shl:8 row_mask:0xf bank_mask:0xf// 000000002BB4: 7E8202FA FF0108FC
	v_mov_b32_dpp v66, v253 row_shr:8 row_mask:0xf bank_mask:0xf// 000000002BBC: 7E8402FA FF0118FD
	v_mov_b32_dpp v67, v253 row_shl:8 row_mask:0xf bank_mask:0xf// 000000002BC4: 7E8602FA FF0108FD
	v_mov_b32_e32 v68, v252                                    // 000000002BCC: 7E8803FC
	v_mov_b32_e32 v69, v253                                    // 000000002BD0: 7E8A03FD
	v_cndmask_b32_e64 v252, v68, v64, s[42:43]                 // 000000002BD4: D10000FC 00AA8144
	v_cndmask_b32_e64 v254, v68, v65, s[78:79]                 // 000000002BDC: D10000FE 013A8344
	v_cndmask_b32_e64 v253, v69, v66, s[42:43]                 // 000000002BE4: D10000FD 00AA8545
	v_cndmask_b32_e64 v255, v69, v67, s[78:79]                 // 000000002BEC: D10000FF 013A8745
	buffer_load_dword v58, v56, s[36:39], 0 offen              // 000000002BF4: E0501000 80093A38
	v_mul_f32_e32 v112, v18, v112                              // 000000002BFC: 0AE0E112
	v_mul_f32_e32 v113, v18, v113                              // 000000002C00: 0AE2E312
	v_mul_f32_e32 v114, v18, v114                              // 000000002C04: 0AE4E512
	v_mul_f32_e32 v115, v18, v115                              // 000000002C08: 0AE6E712
	v_mul_f32_e32 v116, v18, v116                              // 000000002C0C: 0AE8E912
	v_mul_f32_e32 v117, v18, v117                              // 000000002C10: 0AEAEB12
	v_mul_f32_e32 v118, v18, v118                              // 000000002C14: 0AECED12
	v_mul_f32_e32 v119, v18, v119                              // 000000002C18: 0AEEEF12
	v_mul_f32_e32 v120, v18, v120                              // 000000002C1C: 0AF0F112
	v_mul_f32_e32 v121, v18, v121                              // 000000002C20: 0AF2F312
	v_mul_f32_e32 v122, v18, v122                              // 000000002C24: 0AF4F512
	v_mul_f32_e32 v123, v18, v123                              // 000000002C28: 0AF6F712
	v_mul_f32_e32 v124, v18, v124                              // 000000002C2C: 0AF8F912
	v_mul_f32_e32 v125, v18, v125                              // 000000002C30: 0AFAFB12
	v_mul_f32_e32 v126, v18, v126                              // 000000002C34: 0AFCFD12
	v_mul_f32_e32 v127, v18, v127                              // 000000002C38: 0AFEFF12
	buffer_load_dwordx4 a[48:51], v28, s[16:19], 0 offen       // 000000002C3C: E05C1000 8084301C
	v_mul_f32_dpp v112, v248, v112 quad_perm:[0,0,0,0] row_mask:0xf bank_mask:0xf// 000000002C44: 0AE0E0FA FF0000F8
	v_mul_f32_dpp v113, v248, v113 quad_perm:[1,1,1,1] row_mask:0xf bank_mask:0xf// 000000002C4C: 0AE2E2FA FF0055F8
	v_mul_f32_dpp v114, v248, v114 quad_perm:[2,2,2,2] row_mask:0xf bank_mask:0xf// 000000002C54: 0AE4E4FA FF00AAF8
	v_mul_f32_dpp v115, v248, v115 quad_perm:[3,3,3,3] row_mask:0xf bank_mask:0xf// 000000002C5C: 0AE6E6FA FF00FFF8
	v_mul_f32_dpp v116, v249, v116 quad_perm:[0,0,0,0] row_mask:0xf bank_mask:0xf// 000000002C64: 0AE8E8FA FF0000F9
	v_mul_f32_dpp v117, v249, v117 quad_perm:[1,1,1,1] row_mask:0xf bank_mask:0xf// 000000002C6C: 0AEAEAFA FF0055F9
	v_mul_f32_dpp v118, v249, v118 quad_perm:[2,2,2,2] row_mask:0xf bank_mask:0xf// 000000002C74: 0AECECFA FF00AAF9
	v_mul_f32_dpp v119, v249, v119 quad_perm:[3,3,3,3] row_mask:0xf bank_mask:0xf// 000000002C7C: 0AEEEEFA FF00FFF9
	v_mul_f32_dpp v120, v250, v120 quad_perm:[0,0,0,0] row_mask:0xf bank_mask:0xf// 000000002C84: 0AF0F0FA FF0000FA
	v_mul_f32_dpp v121, v250, v121 quad_perm:[1,1,1,1] row_mask:0xf bank_mask:0xf// 000000002C8C: 0AF2F2FA FF0055FA
	v_mul_f32_dpp v122, v250, v122 quad_perm:[2,2,2,2] row_mask:0xf bank_mask:0xf// 000000002C94: 0AF4F4FA FF00AAFA
	v_mul_f32_dpp v123, v250, v123 quad_perm:[3,3,3,3] row_mask:0xf bank_mask:0xf// 000000002C9C: 0AF6F6FA FF00FFFA
	v_mul_f32_dpp v124, v251, v124 quad_perm:[0,0,0,0] row_mask:0xf bank_mask:0xf// 000000002CA4: 0AF8F8FA FF0000FB
	v_mul_f32_dpp v125, v251, v125 quad_perm:[1,1,1,1] row_mask:0xf bank_mask:0xf// 000000002CAC: 0AFAFAFA FF0055FB
	v_mul_f32_dpp v126, v251, v126 quad_perm:[2,2,2,2] row_mask:0xf bank_mask:0xf// 000000002CB4: 0AFCFCFA FF00AAFB
	v_mul_f32_dpp v127, v251, v127 quad_perm:[3,3,3,3] row_mask:0xf bank_mask:0xf// 000000002CBC: 0AFEFEFA FF00FFFB
	buffer_load_dwordx4 a[52:55], v28, s[16:19], 0 offen offset:1024// 000000002CC4: E05C1400 8084341C
	s_cmp_le_i32 s90, s89                                      // 000000002CCC: BF05595A
	s_cbranch_scc1 label_0326                                  // 000000002CD0: BF850071
	v_mov_b32_e32 v66, 0xff800000                              // 000000002CD4: 7E8402FF FF800000
	s_mov_b32 s60, s90                                         // 000000002CDC: BEBC005A
	s_add_u32 s61, s89, 0xff                                   // 000000002CE0: 803DFF59 000000FF
	v_mov_b32_e32 v64, s61                                     // 000000002CE8: 7E80023D
	v_lshrrev_b32_e32 v240, 4, v0                              // 000000002CEC: 21E00084
	v_mul_i32_i24_e32 v240, 4, v240                            // 000000002CF0: 0DE1E084
	v_add_u32_e32 v240, s60, v240                              // 000000002CF4: 69E1E03C
	s_mov_b32 s61, 0                                           // 000000002CF8: BEBD0080
	s_mul_i32 s60, 16, s7                                      // 000000002CFC: 923C0790
	v_sub_u32_e64 v240, v240, s61                              // 000000002D00: D13500F0 00007BF0
	v_add_u32_e32 v240, s60, v240                              // 000000002D08: 69E1E03C
	v_add_u32_e32 v241, 1, v240                                // 000000002D0C: 69E3E081
	v_add_u32_e32 v242, 2, v240                                // 000000002D10: 69E5E082
	v_add_u32_e32 v243, 3, v240                                // 000000002D14: 69E7E083
	v_cmp_le_u32_e64 s[40:41], v240, v64                       // 000000002D18: D0CB0028 000281F0
	v_add_u32_e32 v240, 64, v240                               // 000000002D20: 69E1E0C0
	s_nop 0                                                    // 000000002D24: BF800000
	v_cndmask_b32_e64 v112, v66, v112, s[40:41]                // 000000002D28: D1000070 00A2E142
	v_cmp_le_u32_e64 s[40:41], v241, v64                       // 000000002D30: D0CB0028 000281F1
	v_add_u32_e32 v241, 64, v241                               // 000000002D38: 69E3E2C0
	s_nop 0                                                    // 000000002D3C: BF800000
	v_cndmask_b32_e64 v113, v66, v113, s[40:41]                // 000000002D40: D1000071 00A2E342
	v_cmp_le_u32_e64 s[40:41], v242, v64                       // 000000002D48: D0CB0028 000281F2
	v_add_u32_e32 v242, 64, v242                               // 000000002D50: 69E5E4C0
	s_nop 0                                                    // 000000002D54: BF800000
	v_cndmask_b32_e64 v114, v66, v114, s[40:41]                // 000000002D58: D1000072 00A2E542
	v_cmp_le_u32_e64 s[40:41], v243, v64                       // 000000002D60: D0CB0028 000281F3
	v_add_u32_e32 v243, 64, v243                               // 000000002D68: 69E7E6C0
	s_nop 0                                                    // 000000002D6C: BF800000
	v_cndmask_b32_e64 v115, v66, v115, s[40:41]                // 000000002D70: D1000073 00A2E742
	v_cmp_le_u32_e64 s[40:41], v240, v64                       // 000000002D78: D0CB0028 000281F0
	v_add_u32_e32 v240, 64, v240                               // 000000002D80: 69E1E0C0
	s_nop 0                                                    // 000000002D84: BF800000
	v_cndmask_b32_e64 v116, v66, v116, s[40:41]                // 000000002D88: D1000074 00A2E942
	v_cmp_le_u32_e64 s[40:41], v241, v64                       // 000000002D90: D0CB0028 000281F1
	v_add_u32_e32 v241, 64, v241                               // 000000002D98: 69E3E2C0
	s_nop 0                                                    // 000000002D9C: BF800000
	v_cndmask_b32_e64 v117, v66, v117, s[40:41]                // 000000002DA0: D1000075 00A2EB42
	v_cmp_le_u32_e64 s[40:41], v242, v64                       // 000000002DA8: D0CB0028 000281F2
	v_add_u32_e32 v242, 64, v242                               // 000000002DB0: 69E5E4C0
	s_nop 0                                                    // 000000002DB4: BF800000
	v_cndmask_b32_e64 v118, v66, v118, s[40:41]                // 000000002DB8: D1000076 00A2ED42
	v_cmp_le_u32_e64 s[40:41], v243, v64                       // 000000002DC0: D0CB0028 000281F3
	v_add_u32_e32 v243, 64, v243                               // 000000002DC8: 69E7E6C0
	s_nop 0                                                    // 000000002DCC: BF800000
	v_cndmask_b32_e64 v119, v66, v119, s[40:41]                // 000000002DD0: D1000077 00A2EF42
	v_cmp_le_u32_e64 s[40:41], v240, v64                       // 000000002DD8: D0CB0028 000281F0
	v_add_u32_e32 v240, 64, v240                               // 000000002DE0: 69E1E0C0
	s_nop 0                                                    // 000000002DE4: BF800000
	v_cndmask_b32_e64 v120, v66, v120, s[40:41]                // 000000002DE8: D1000078 00A2F142
	v_cmp_le_u32_e64 s[40:41], v241, v64                       // 000000002DF0: D0CB0028 000281F1
	v_add_u32_e32 v241, 64, v241                               // 000000002DF8: 69E3E2C0
	s_nop 0                                                    // 000000002DFC: BF800000
	v_cndmask_b32_e64 v121, v66, v121, s[40:41]                // 000000002E00: D1000079 00A2F342
	v_cmp_le_u32_e64 s[40:41], v242, v64                       // 000000002E08: D0CB0028 000281F2
	v_add_u32_e32 v242, 64, v242                               // 000000002E10: 69E5E4C0
	s_nop 0                                                    // 000000002E14: BF800000
	v_cndmask_b32_e64 v122, v66, v122, s[40:41]                // 000000002E18: D100007A 00A2F542
	v_cmp_le_u32_e64 s[40:41], v243, v64                       // 000000002E20: D0CB0028 000281F3
	v_add_u32_e32 v243, 64, v243                               // 000000002E28: 69E7E6C0
	s_nop 0                                                    // 000000002E2C: BF800000
	v_cndmask_b32_e64 v123, v66, v123, s[40:41]                // 000000002E30: D100007B 00A2F742
	v_cmp_le_u32_e64 s[40:41], v240, v64                       // 000000002E38: D0CB0028 000281F0
	v_add_u32_e32 v240, 64, v240                               // 000000002E40: 69E1E0C0
	s_nop 0                                                    // 000000002E44: BF800000
	v_cndmask_b32_e64 v124, v66, v124, s[40:41]                // 000000002E48: D100007C 00A2F942
	v_cmp_le_u32_e64 s[40:41], v241, v64                       // 000000002E50: D0CB0028 000281F1
	v_add_u32_e32 v241, 64, v241                               // 000000002E58: 69E3E2C0
	s_nop 0                                                    // 000000002E5C: BF800000
	v_cndmask_b32_e64 v125, v66, v125, s[40:41]                // 000000002E60: D100007D 00A2FB42
	v_cmp_le_u32_e64 s[40:41], v242, v64                       // 000000002E68: D0CB0028 000281F2
	v_add_u32_e32 v242, 64, v242                               // 000000002E70: 69E5E4C0
	s_nop 0                                                    // 000000002E74: BF800000
	v_cndmask_b32_e64 v126, v66, v126, s[40:41]                // 000000002E78: D100007E 00A2FD42
	v_cmp_le_u32_e64 s[40:41], v243, v64                       // 000000002E80: D0CB0028 000281F3
	v_add_u32_e32 v243, 64, v243                               // 000000002E88: 69E7E6C0
	s_nop 0                                                    // 000000002E8C: BF800000
	v_cndmask_b32_e64 v127, v66, v127, s[40:41]                // 000000002E90: D100007F 00A2FF42

0000000000002e98 <label_0326>:
	s_add_u32 s90, s91, s90                                    // 000000002E98: 805A5A5B
	v_mov_b32_e32 v48, v112                                    // 000000002E9C: 7E600370
	v_max3_f32 v48, v112, v113, v48                            // 000000002EA0: D1D30030 04C2E370
	v_max3_f32 v48, v114, v115, v48                            // 000000002EA8: D1D30030 04C2E772
	v_max3_f32 v48, v116, v117, v48                            // 000000002EB0: D1D30030 04C2EB74
	v_max3_f32 v48, v118, v119, v48                            // 000000002EB8: D1D30030 04C2EF76
	v_max3_f32 v48, v120, v121, v48                            // 000000002EC0: D1D30030 04C2F378
	v_max3_f32 v48, v122, v123, v48                            // 000000002EC8: D1D30030 04C2F77A
	v_max3_f32 v48, v124, v125, v48                            // 000000002ED0: D1D30030 04C2FB7C
	v_max3_f32 v48, v126, v127, v48                            // 000000002ED8: D1D30030 04C2FF7E
	ds_write_b32 v8, v48 offset:16896                          // 000000002EE0: D81A4200 00003008
	buffer_load_dwordx4 a[56:59], v29, s[16:19], 0 offen       // 000000002EE8: E05C1000 8084381D
	v_mul_u32_u24_dpp v64, v17, v54 row_newbcast:1 row_mask:0xf bank_mask:0xf// 000000002EF0: 10806CFA FF015111
	v_mul_u32_u24_dpp v65, v17, v54 row_newbcast:5 row_mask:0xf bank_mask:0xf// 000000002EF8: 10826CFA FF015511
	v_mul_u32_u24_dpp v66, v17, v54 row_newbcast:9 row_mask:0xf bank_mask:0xf// 000000002F00: 10846CFA FF015911
	v_mul_u32_u24_dpp v67, v17, v54 row_newbcast:13 row_mask:0xf bank_mask:0xf// 000000002F08: 10866CFA FF015D11
	v_add_u32_e32 v34, v64, v6                                 // 000000002F10: 68440D40
	v_add_u32_e32 v35, v65, v6                                 // 000000002F14: 68460D41
	v_add_u32_e32 v36, v66, v6                                 // 000000002F18: 68480D42
	v_add_u32_e32 v37, v67, v6                                 // 000000002F1C: 684A0D43
	v_mul_f32_e32 v208, v49, v208                              // 000000002F20: 0BA1A131
	v_mul_f32_e32 v209, v49, v209                              // 000000002F24: 0BA3A331
	v_mul_f32_e32 v210, v49, v210                              // 000000002F28: 0BA5A531
	v_mul_f32_e32 v211, v49, v211                              // 000000002F2C: 0BA7A731
	v_mul_f32_e32 v212, v49, v212                              // 000000002F30: 0BA9A931
	v_mul_f32_e32 v213, v49, v213                              // 000000002F34: 0BABAB31
	v_mul_f32_e32 v214, v49, v214                              // 000000002F38: 0BADAD31
	v_mul_f32_e32 v215, v49, v215                              // 000000002F3C: 0BAFAF31
	s_waitcnt lgkmcnt(0)                                       // 000000002F40: BF8CC07F
	s_barrier                                                  // 000000002F44: BF8A0000
	ds_read_b32 v64, v7 offset:16896                           // 000000002F48: D86C4200 40000007
	ds_read_b32 v65, v7 offset:16960                           // 000000002F50: D86C4240 41000007
	ds_read_b32 v66, v7 offset:17024                           // 000000002F58: D86C4280 42000007
	ds_read_b32 v67, v7 offset:17088                           // 000000002F60: D86C42C0 43000007
	ds_read_b32 v68, v7 offset:17152                           // 000000002F68: D86C4300 44000007
	ds_read_b32 v69, v7 offset:17216                           // 000000002F70: D86C4340 45000007
	ds_read_b32 v70, v7 offset:17280                           // 000000002F78: D86C4380 46000007
	ds_read_b32 v71, v7 offset:17344                           // 000000002F80: D86C43C0 47000007
	ds_read_b32 v72, v7 offset:17408                           // 000000002F88: D86C4400 48000007
	ds_read_b32 v73, v7 offset:17472                           // 000000002F90: D86C4440 49000007
	ds_read_b32 v74, v7 offset:17536                           // 000000002F98: D86C4480 4A000007
	ds_read_b32 v75, v7 offset:17600                           // 000000002FA0: D86C44C0 4B000007
	ds_read_b32 v76, v7 offset:17664                           // 000000002FA8: D86C4500 4C000007
	ds_read_b32 v77, v7 offset:17728                           // 000000002FB0: D86C4540 4D000007
	ds_read_b32 v78, v7 offset:17792                           // 000000002FB8: D86C4580 4E000007
	ds_read_b32 v79, v7 offset:17856                           // 000000002FC0: D86C45C0 4F000007
	buffer_load_dwordx4 a[60:63], v29, s[16:19], 0 offen offset:1024// 000000002FC8: E05C1400 80843C1D
	v_mul_f32_e32 v176, v44, v176                              // 000000002FD0: 0B61612C
	v_mul_f32_e32 v177, v44, v177                              // 000000002FD4: 0B63632C
	v_mul_f32_e32 v178, v44, v178                              // 000000002FD8: 0B65652C
	v_mul_f32_e32 v179, v44, v179                              // 000000002FDC: 0B67672C
	v_mul_f32_e32 v180, v44, v180                              // 000000002FE0: 0B69692C
	v_mul_f32_e32 v181, v44, v181                              // 000000002FE4: 0B6B6B2C
	v_mul_f32_e32 v182, v44, v182                              // 000000002FE8: 0B6D6D2C
	v_mul_f32_e32 v183, v44, v183                              // 000000002FEC: 0B6F6F2C
	s_waitcnt lgkmcnt(0)                                       // 000000002FF0: BF8CC07F
	v_max3_f32 v48, v64, v65, v48                              // 000000002FF4: D1D30030 04C28340
	v_max3_f32 v48, v66, v67, v48                              // 000000002FFC: D1D30030 04C28742
	v_max3_f32 v48, v68, v69, v48                              // 000000003004: D1D30030 04C28B44
	v_max3_f32 v48, v70, v71, v48                              // 00000000300C: D1D30030 04C28F46
	v_max3_f32 v48, v72, v73, v48                              // 000000003014: D1D30030 04C29348
	v_max3_f32 v48, v74, v75, v48                              // 00000000301C: D1D30030 04C2974A
	v_max3_f32 v48, v76, v77, v48                              // 000000003024: D1D30030 04C29B4C
	v_max3_f32 v48, v78, v79, v48                              // 00000000302C: D1D30030 04C29F4E
	buffer_load_dwordx4 a[96:99], v34, s[20:23], 0 offen       // 000000003034: E05C1000 80856022
	v_mov_b32_e32 v64, 0xff800000                              // 00000000303C: 7E8002FF FF800000
	v_cmp_eq_u32_e64 s[40:41], v64, v11                        // 000000003044: D0CA0028 00021740
	s_nop 1                                                    // 00000000304C: BF800001
	v_max_f32_e32 v15, v48, v11                                // 000000003050: 161E1730
	v_mul_f32_e32 v53, s64, v15                                // 000000003054: 0A6A1E40
	v_fma_f32 v112, v112, s64, -v53                            // 000000003058: D1CB0070 84D48170
	v_fma_f32 v113, v113, s64, -v53                            // 000000003060: D1CB0071 84D48171
	v_fma_f32 v114, v114, s64, -v53                            // 000000003068: D1CB0072 84D48172
	v_fma_f32 v115, v115, s64, -v53                            // 000000003070: D1CB0073 84D48173
	v_fma_f32 v116, v116, s64, -v53                            // 000000003078: D1CB0074 84D48174
	v_fma_f32 v117, v117, s64, -v53                            // 000000003080: D1CB0075 84D48175
	v_fma_f32 v118, v118, s64, -v53                            // 000000003088: D1CB0076 84D48176
	v_fma_f32 v119, v119, s64, -v53                            // 000000003090: D1CB0077 84D48177
	v_fma_f32 v120, v120, s64, -v53                            // 000000003098: D1CB0078 84D48178
	v_fma_f32 v121, v121, s64, -v53                            // 0000000030A0: D1CB0079 84D48179
	v_fma_f32 v122, v122, s64, -v53                            // 0000000030A8: D1CB007A 84D4817A
	v_fma_f32 v123, v123, s64, -v53                            // 0000000030B0: D1CB007B 84D4817B
	v_fma_f32 v124, v124, s64, -v53                            // 0000000030B8: D1CB007C 84D4817C
	v_fma_f32 v125, v125, s64, -v53                            // 0000000030C0: D1CB007D 84D4817D
	v_fma_f32 v126, v126, s64, -v53                            // 0000000030C8: D1CB007E 84D4817E
	v_fma_f32 v127, v127, s64, -v53                            // 0000000030D0: D1CB007F 84D4817F
	buffer_load_dwordx4 a[100:103], v35, s[20:23], 0 offen     // 0000000030D8: E05C1000 80856423
	v_exp_f32_e32 v112, v112                                   // 0000000030E0: 7EE04170
	v_exp_f32_e32 v113, v113                                   // 0000000030E4: 7EE24171
	v_exp_f32_e32 v114, v114                                   // 0000000030E8: 7EE44172
	v_exp_f32_e32 v115, v115                                   // 0000000030EC: 7EE64173
	v_exp_f32_e32 v116, v116                                   // 0000000030F0: 7EE84174
	v_exp_f32_e32 v117, v117                                   // 0000000030F4: 7EEA4175
	v_exp_f32_e32 v118, v118                                   // 0000000030F8: 7EEC4176
	v_exp_f32_e32 v119, v119                                   // 0000000030FC: 7EEE4177
	v_exp_f32_e32 v120, v120                                   // 000000003100: 7EF04178
	v_exp_f32_e32 v121, v121                                   // 000000003104: 7EF24179
	v_exp_f32_e32 v122, v122                                   // 000000003108: 7EF4417A
	v_exp_f32_e32 v123, v123                                   // 00000000310C: 7EF6417B
	v_exp_f32_e32 v124, v124                                   // 000000003110: 7EF8417C
	v_exp_f32_e32 v125, v125                                   // 000000003114: 7EFA417D
	v_exp_f32_e32 v126, v126                                   // 000000003118: 7EFC417E
	v_exp_f32_e32 v127, v127                                   // 00000000311C: 7EFE417F
	buffer_load_dwordx4 a[104:107], v36, s[20:23], 0 offen     // 000000003120: E05C1000 80856824
	v_mul_f32_dpp v240, v252, v112 quad_perm:[0,0,0,0] row_mask:0xf bank_mask:0xf// 000000003128: 0BE0E0FA FF0000FC
	v_mul_f32_dpp v241, v252, v113 quad_perm:[1,1,1,1] row_mask:0xf bank_mask:0xf// 000000003130: 0BE2E2FA FF0055FC
	v_mul_f32_dpp v242, v252, v114 quad_perm:[2,2,2,2] row_mask:0xf bank_mask:0xf// 000000003138: 0BE4E4FA FF00AAFC
	v_mul_f32_dpp v243, v252, v115 quad_perm:[3,3,3,3] row_mask:0xf bank_mask:0xf// 000000003140: 0BE6E6FA FF00FFFC
	v_mul_f32_dpp v244, v253, v116 quad_perm:[0,0,0,0] row_mask:0xf bank_mask:0xf// 000000003148: 0BE8E8FA FF0000FD
	v_mul_f32_dpp v245, v253, v117 quad_perm:[1,1,1,1] row_mask:0xf bank_mask:0xf// 000000003150: 0BEAEAFA FF0055FD
	v_mul_f32_dpp v246, v253, v118 quad_perm:[2,2,2,2] row_mask:0xf bank_mask:0xf// 000000003158: 0BECECFA FF00AAFD
	v_mul_f32_dpp v247, v253, v119 quad_perm:[3,3,3,3] row_mask:0xf bank_mask:0xf// 000000003160: 0BEEEEFA FF00FFFD
	v_mul_f32_dpp v248, v254, v120 quad_perm:[0,0,0,0] row_mask:0xf bank_mask:0xf// 000000003168: 0BF0F0FA FF0000FE
	v_mul_f32_dpp v249, v254, v121 quad_perm:[1,1,1,1] row_mask:0xf bank_mask:0xf// 000000003170: 0BF2F2FA FF0055FE
	v_mul_f32_dpp v250, v254, v122 quad_perm:[2,2,2,2] row_mask:0xf bank_mask:0xf// 000000003178: 0BF4F4FA FF00AAFE
	v_mul_f32_dpp v251, v254, v123 quad_perm:[3,3,3,3] row_mask:0xf bank_mask:0xf// 000000003180: 0BF6F6FA FF00FFFE
	v_mul_f32_dpp v252, v255, v124 quad_perm:[0,0,0,0] row_mask:0xf bank_mask:0xf// 000000003188: 0BF8F8FA FF0000FF
	v_mul_f32_dpp v253, v255, v125 quad_perm:[1,1,1,1] row_mask:0xf bank_mask:0xf// 000000003190: 0BFAFAFA FF0055FF
	v_mul_f32_dpp v254, v255, v126 quad_perm:[2,2,2,2] row_mask:0xf bank_mask:0xf// 000000003198: 0BFCFCFA FF00AAFF
	v_mul_f32_dpp v255, v255, v127 quad_perm:[3,3,3,3] row_mask:0xf bank_mask:0xf// 0000000031A0: 0BFEFEFA FF00FFFF
	v_mov_b32_e32 v48, 0x358637bd                              // 0000000031A8: 7E6002FF 358637BD
	v_max3_f32 v48, |v240|, |v241|, v48                        // 0000000031B0: D1D30330 04C3E3F0
	v_max3_f32 v48, |v242|, |v243|, v48                        // 0000000031B8: D1D30330 04C3E7F2
	v_max3_f32 v48, |v244|, |v245|, v48                        // 0000000031C0: D1D30330 04C3EBF4
	v_max3_f32 v48, |v246|, |v247|, v48                        // 0000000031C8: D1D30330 04C3EFF6
	v_max3_f32 v48, |v248|, |v249|, v48                        // 0000000031D0: D1D30330 04C3F3F8
	v_max3_f32 v48, |v250|, |v251|, v48                        // 0000000031D8: D1D30330 04C3F7FA
	v_max3_f32 v48, |v252|, |v253|, v48                        // 0000000031E0: D1D30330 04C3FBFC
	v_max3_f32 v48, |v254|, |v255|, v48                        // 0000000031E8: D1D30330 04C3FFFE
	buffer_load_dwordx4 a[108:111], v37, s[20:23], 0 offen     // 0000000031F0: E05C1000 80856C25
	ds_write_b32 v8, v48 offset:20992                          // 0000000031F8: D81A5200 00003008
	v_sub_f32_e32 v49, v11, v15                                // 000000003200: 04621F0B
	v_cndmask_b32_e64 v49, v49, 0, s[40:41]                    // 000000003204: D1000031 00A10131
	v_mov_b32_e32 v11, v15                                     // 00000000320C: 7E16030F
	v_mul_f32_e32 v49, s64, v49                                // 000000003210: 0A626240
	v_exp_f32_e32 v49, v49                                     // 000000003214: 7E624131
	s_waitcnt lgkmcnt(0)                                       // 000000003218: BF8CC07F
	s_barrier                                                  // 00000000321C: BF8A0000
	ds_read_b32 v64, v7 offset:20992                           // 000000003220: D86C5200 40000007
	ds_read_b32 v65, v7 offset:21056                           // 000000003228: D86C5240 41000007
	ds_read_b32 v66, v7 offset:21120                           // 000000003230: D86C5280 42000007
	ds_read_b32 v67, v7 offset:21184                           // 000000003238: D86C52C0 43000007
	ds_read_b32 v68, v7 offset:21248                           // 000000003240: D86C5300 44000007
	ds_read_b32 v69, v7 offset:21312                           // 000000003248: D86C5340 45000007
	ds_read_b32 v70, v7 offset:21376                           // 000000003250: D86C5380 46000007
	ds_read_b32 v71, v7 offset:21440                           // 000000003258: D86C53C0 47000007
	ds_read_b32 v72, v7 offset:21504                           // 000000003260: D86C5400 48000007
	ds_read_b32 v73, v7 offset:21568                           // 000000003268: D86C5440 49000007
	ds_read_b32 v74, v7 offset:21632                           // 000000003270: D86C5480 4A000007
	ds_read_b32 v75, v7 offset:21696                           // 000000003278: D86C54C0 4B000007
	ds_read_b32 v76, v7 offset:21760                           // 000000003280: D86C5500 4C000007
	ds_read_b32 v77, v7 offset:21824                           // 000000003288: D86C5540 4D000007
	ds_read_b32 v78, v7 offset:21888                           // 000000003290: D86C5580 4E000007
	ds_read_b32 v79, v7 offset:21952                           // 000000003298: D86C55C0 4F000007
	v_mul_f32_e32 v38, v49, v38                                // 0000000032A0: 0A4C4D31
	v_mov_b32_e32 v15, v112                                    // 0000000032A4: 7E1E0370
	v_add_f32_e32 v15, v113, v15                               // 0000000032A8: 021E1F71
	v_add_f32_e32 v15, v114, v15                               // 0000000032AC: 021E1F72
	v_add_f32_e32 v15, v115, v15                               // 0000000032B0: 021E1F73
	v_add_f32_e32 v15, v116, v15                               // 0000000032B4: 021E1F74
	v_add_f32_e32 v15, v117, v15                               // 0000000032B8: 021E1F75
	v_add_f32_e32 v15, v118, v15                               // 0000000032BC: 021E1F76
	v_add_f32_e32 v15, v119, v15                               // 0000000032C0: 021E1F77
	v_add_f32_e32 v15, v120, v15                               // 0000000032C4: 021E1F78
	v_add_f32_e32 v15, v121, v15                               // 0000000032C8: 021E1F79
	v_add_f32_e32 v15, v122, v15                               // 0000000032CC: 021E1F7A
	v_add_f32_e32 v15, v123, v15                               // 0000000032D0: 021E1F7B
	v_add_f32_e32 v15, v124, v15                               // 0000000032D4: 021E1F7C
	v_add_f32_e32 v15, v125, v15                               // 0000000032D8: 021E1F7D
	v_add_f32_e32 v15, v126, v15                               // 0000000032DC: 021E1F7E
	v_add_f32_e32 v15, v127, v15                               // 0000000032E0: 021E1F7F
	v_add_f32_e32 v38, v15, v38                                // 0000000032E4: 024C4D0F
	s_waitcnt lgkmcnt(0)                                       // 0000000032E8: BF8CC07F
	v_max3_f32 v48, |v64|, |v65|, v48                          // 0000000032EC: D1D30330 04C28340
	v_max3_f32 v48, |v66|, |v67|, v48                          // 0000000032F4: D1D30330 04C28742
	v_max3_f32 v48, |v68|, |v69|, v48                          // 0000000032FC: D1D30330 04C28B44
	v_max3_f32 v48, |v70|, |v71|, v48                          // 000000003304: D1D30330 04C28F46
	v_max3_f32 v48, |v72|, |v73|, v48                          // 00000000330C: D1D30330 04C29348
	v_max3_f32 v48, |v74|, |v75|, v48                          // 000000003314: D1D30330 04C2974A
	v_max3_f32 v48, |v76|, |v77|, v48                          // 00000000331C: D1D30330 04C29B4C
	v_max3_f32 v48, |v78|, |v79|, v48                          // 000000003324: D1D30330 04C29F4E
	s_nop 2                                                    // 00000000332C: BF800002
	v_rcp_f32_e32 v48, v48                                     // 000000003330: 7E604530
	s_nop 1                                                    // 000000003334: BF800001
	v_mul_f32_e32 v48, 0x43700000, v48                         // 000000003338: 0A6060FF 43700000
	v_mul_f32_e32 v112, v48, v240                              // 000000003340: 0AE1E130
	v_mul_f32_e32 v113, v48, v241                              // 000000003344: 0AE3E330
	v_mul_f32_e32 v114, v48, v242                              // 000000003348: 0AE5E530
	v_mul_f32_e32 v115, v48, v243                              // 00000000334C: 0AE7E730
	v_mul_f32_e32 v116, v48, v244                              // 000000003350: 0AE9E930
	v_mul_f32_e32 v117, v48, v245                              // 000000003354: 0AEBEB30
	v_mul_f32_e32 v118, v48, v246                              // 000000003358: 0AEDED30
	v_mul_f32_e32 v119, v48, v247                              // 00000000335C: 0AEFEF30
	v_mul_f32_e32 v120, v48, v248                              // 000000003360: 0AF1F130
	v_mul_f32_e32 v121, v48, v249                              // 000000003364: 0AF3F330
	v_mul_f32_e32 v122, v48, v250                              // 000000003368: 0AF5F530
	v_mul_f32_e32 v123, v48, v251                              // 00000000336C: 0AF7F730
	v_mul_f32_e32 v124, v48, v252                              // 000000003370: 0AF9F930
	v_mul_f32_e32 v125, v48, v253                              // 000000003374: 0AFBFB30
	v_mul_f32_e32 v126, v48, v254                              // 000000003378: 0AFDFD30
	v_mul_f32_e32 v127, v48, v255                              // 00000000337C: 0AFFFF30
	v_cvt_pk_fp8_f32 v112, v112, v113                          // 000000003380: D2A20070 0002E370
	v_cvt_pk_fp8_f32 v112, v114, v115 op_sel:[0,0,1]           // 000000003388: D2A24070 0002E772
	v_cvt_pk_fp8_f32 v113, v116, v117                          // 000000003390: D2A20071 0002EB74
	v_cvt_pk_fp8_f32 v113, v118, v119 op_sel:[0,0,1]           // 000000003398: D2A24071 0002EF76
	v_cvt_pk_fp8_f32 v114, v120, v121                          // 0000000033A0: D2A20072 0002F378
	v_cvt_pk_fp8_f32 v114, v122, v123 op_sel:[0,0,1]           // 0000000033A8: D2A24072 0002F77A
	v_cvt_pk_fp8_f32 v115, v124, v125                          // 0000000033B0: D2A20073 0002FB7C
	v_cvt_pk_fp8_f32 v115, v126, v127 op_sel:[0,0,1]           // 0000000033B8: D2A24073 0002FF7E
	ds_write_b32 v10, v112 offset:25088                        // 0000000033C0: D81A6200 0000700A
	ds_write_b32 v10, v113 offset:26112                        // 0000000033C8: D81A6600 0000710A
	ds_write_b32 v10, v114 offset:27136                        // 0000000033D0: D81A6A00 0000720A
	ds_write_b32 v10, v115 offset:28160                        // 0000000033D8: D81A6E00 0000730A
	v_add_f32_e32 v208, v208, v176                             // 0000000033E0: 03A161D0
	v_add_f32_e32 v209, v209, v177                             // 0000000033E4: 03A363D1
	v_add_f32_e32 v210, v210, v178                             // 0000000033E8: 03A565D2
	v_add_f32_e32 v211, v211, v179                             // 0000000033EC: 03A767D3
	v_add_f32_e32 v212, v212, v180                             // 0000000033F0: 03A969D4
	v_add_f32_e32 v213, v213, v181                             // 0000000033F4: 03AB6BD5
	v_add_f32_e32 v214, v214, v182                             // 0000000033F8: 03AD6DD6
	v_add_f32_e32 v215, v215, v183                             // 0000000033FC: 03AF6FD7
	v_rcp_f32_e32 v44, v48                                     // 000000003400: 7E584530
	s_waitcnt lgkmcnt(0)                                       // 000000003404: BF8CC07F
	s_barrier                                                  // 000000003408: BF8A0000
	ds_read_b64 v[112:113], v9 offset:25088                    // 00000000340C: D8EC6200 70000009
	ds_read_b64 v[114:115], v9 offset:25216                    // 000000003414: D8EC6280 72000009
	ds_read_b64 v[116:117], v9 offset:26112                    // 00000000341C: D8EC6600 74000009
	ds_read_b64 v[118:119], v9 offset:26240                    // 000000003424: D8EC6680 76000009
	ds_read_b64 v[120:121], v9 offset:27136                    // 00000000342C: D8EC6A00 78000009
	ds_read_b64 v[122:123], v9 offset:27264                    // 000000003434: D8EC6A80 7A000009
	ds_read_b64 v[124:125], v9 offset:28160                    // 00000000343C: D8EC6E00 7C000009
	ds_read_b64 v[126:127], v9 offset:28288                    // 000000003444: D8EC6E80 7E000009
	s_waitcnt vmcnt(15)                                        // 00000000344C: BF8C0F7F
	s_waitcnt lgkmcnt(7)                                       // 000000003450: BF8CC77F
	v_mfma_f32_16x16x32_fp8_fp8 v[176:179], a[64:65], v[112:113], 0// 000000003454: D3F300B0 0A02E140
	s_waitcnt lgkmcnt(6)                                       // 00000000345C: BF8CC67F
	v_mfma_f32_16x16x32_fp8_fp8 v[176:179], a[66:67], v[114:115], v[176:179]// 000000003460: D3F300B0 0EC2E542
	buffer_load_dwordx4 a[112:115], v34, s[20:23], 0 offen offset:1024// 000000003468: E05C1400 80857022
	s_waitcnt lgkmcnt(5)                                       // 000000003470: BF8CC57F
	v_mfma_f32_16x16x32_fp8_fp8 v[176:179], a[68:69], v[116:117], v[176:179]// 000000003474: D3F300B0 0EC2E944
	s_waitcnt lgkmcnt(4)                                       // 00000000347C: BF8CC47F
	v_mfma_f32_16x16x32_fp8_fp8 v[176:179], a[70:71], v[118:119], v[176:179]// 000000003480: D3F300B0 0EC2ED46
	s_waitcnt lgkmcnt(3)                                       // 000000003488: BF8CC37F
	v_mfma_f32_16x16x32_fp8_fp8 v[176:179], a[72:73], v[120:121], v[176:179]// 00000000348C: D3F300B0 0EC2F148
	s_waitcnt lgkmcnt(2)                                       // 000000003494: BF8CC27F
	v_mfma_f32_16x16x32_fp8_fp8 v[176:179], a[74:75], v[122:123], v[176:179]// 000000003498: D3F300B0 0EC2F54A
	buffer_load_dwordx4 a[116:119], v35, s[20:23], 0 offen offset:1024// 0000000034A0: E05C1400 80857423
	s_waitcnt lgkmcnt(1)                                       // 0000000034A8: BF8CC17F
	v_mfma_f32_16x16x32_fp8_fp8 v[176:179], a[76:77], v[124:125], v[176:179]// 0000000034AC: D3F300B0 0EC2F94C
	s_waitcnt lgkmcnt(0)                                       // 0000000034B4: BF8CC07F
	v_mfma_f32_16x16x32_fp8_fp8 v[176:179], a[78:79], v[126:127], v[176:179]// 0000000034B8: D3F300B0 0EC2FD4E
	v_mfma_f32_16x16x32_fp8_fp8 v[180:183], a[80:81], v[112:113], 0// 0000000034C0: D3F300B4 0A02E150
	v_mfma_f32_16x16x32_fp8_fp8 v[180:183], a[82:83], v[114:115], v[180:183]// 0000000034C8: D3F300B4 0ED2E552
	buffer_load_dwordx4 a[120:123], v36, s[20:23], 0 offen offset:1024// 0000000034D0: E05C1400 80857824
	v_mfma_f32_16x16x32_fp8_fp8 v[180:183], a[84:85], v[116:117], v[180:183]// 0000000034D8: D3F300B4 0ED2E954
	v_mfma_f32_16x16x32_fp8_fp8 v[180:183], a[86:87], v[118:119], v[180:183]// 0000000034E0: D3F300B4 0ED2ED56
	v_mfma_f32_16x16x32_fp8_fp8 v[180:183], a[88:89], v[120:121], v[180:183]// 0000000034E8: D3F300B4 0ED2F158
	v_mfma_f32_16x16x32_fp8_fp8 v[180:183], a[90:91], v[122:123], v[180:183]// 0000000034F0: D3F300B4 0ED2F55A
	buffer_load_dwordx4 a[124:127], v37, s[20:23], 0 offen offset:1024// 0000000034F8: E05C1400 80857C25
	v_mfma_f32_16x16x32_fp8_fp8 v[180:183], a[92:93], v[124:125], v[180:183]// 000000003500: D3F300B4 0ED2F95C
	s_lshr_b32 s57, s70, 4                                     // 000000003508: 8F398446
	s_add_u32 s57, 48, s57                                     // 00000000350C: 803939B0
	v_mfma_f32_16x16x32_fp8_fp8 v[180:183], a[94:95], v[126:127], v[180:183]// 000000003510: D3F300B4 0ED2FD5E
	s_cmp_ge_u32 s57, s73                                      // 000000003518: BF094939
	s_cselect_b32 s56, 0, s56                                  // 00000000351C: 85383880
	v_add_u32_e32 v1, s56, v1                                  // 000000003520: 68020238
	s_addk_i32 s70, 0x100                                      // 000000003524: B7460100
	s_cmp_lt_i32 s70, s71                                      // 000000003528: BF044746
	s_cbranch_scc0 label_078F                                  // 00000000352C: BF8402C3
	s_waitcnt vmcnt(8) lgkmcnt(0)                              // 000000003530: BF8C0078
	v_mul_u32_u24_dpp v64, v16, v54 row_newbcast:0 row_mask:0xf bank_mask:0xf// 000000003534: 10806CFA FF015010
	v_mul_u32_u24_dpp v65, v16, v54 row_newbcast:4 row_mask:0xf bank_mask:0xf// 00000000353C: 10826CFA FF015410
	v_mul_u32_u24_dpp v66, v16, v54 row_newbcast:8 row_mask:0xf bank_mask:0xf// 000000003544: 10846CFA FF015810
	v_mul_u32_u24_dpp v67, v16, v54 row_newbcast:12 row_mask:0xf bank_mask:0xf// 00000000354C: 10866CFA FF015C10
	v_add_u32_e32 v22, v64, v5                                 // 000000003554: 682C0B40
	v_add_u32_e32 v23, v65, v5                                 // 000000003558: 682E0B41
	v_add_u32_e32 v24, v66, v5                                 // 00000000355C: 68300B42
	v_add_u32_e32 v25, v67, v5                                 // 000000003560: 68320B43
	v_mul_u32_u24_dpp v64, v16, v63 quad_perm:[0,0,0,0] row_mask:0xf bank_mask:0xf// 000000003564: 10807EFA FF000010
	v_add_u32_e32 v2, v64, v59                                 // 00000000356C: 68047740
	v_mul_u32_u24_dpp v64, v16, v63 quad_perm:[0,0,0,0] row_mask:0xf bank_mask:0xf// 000000003570: 10807EFA FF000010
	v_add_u32_e32 v55, v64, v60                                // 000000003578: 686E7940
	v_mfma_f32_16x16x32_fp8_fp8 v[112:115], a[32:33], v[80:81], 0// 00000000357C: D3F30070 0A02A120
	v_mfma_f32_16x16x32_fp8_fp8 v[112:115], a[34:35], v[82:83], v[112:115]// 000000003584: D3F30070 0DC2A522
	buffer_load_dwordx4 a[0:3], v22, s[16:19], 0 offen         // 00000000358C: E05C1000 80840016
	v_mfma_f32_16x16x32_fp8_fp8 v[112:115], a[36:37], v[84:85], v[112:115]// 000000003594: D3F30070 0DC2A924
	v_mfma_f32_16x16x32_fp8_fp8 v[112:115], a[38:39], v[86:87], v[112:115]// 00000000359C: D3F30070 0DC2AD26
	buffer_load_dword v17, v1, s[24:27], 0 offen               // 0000000035A4: E0501000 80061101
	v_mfma_f32_16x16x32_fp8_fp8 v[116:119], a[40:41], v[80:81], 0// 0000000035AC: D3F30074 0A02A128
	v_mfma_f32_16x16x32_fp8_fp8 v[116:119], a[42:43], v[82:83], v[116:119]// 0000000035B4: D3F30074 0DD2A52A
	buffer_load_dwordx4 a[4:7], v22, s[16:19], 0 offen offset:1024// 0000000035BC: E05C1400 80840416
	v_mfma_f32_16x16x32_fp8_fp8 v[116:119], a[44:45], v[84:85], v[116:119]// 0000000035C4: D3F30074 0DD2A92C
	v_mfma_f32_16x16x32_fp8_fp8 v[116:119], a[46:47], v[86:87], v[116:119]// 0000000035CC: D3F30074 0DD2AD2E
	v_mfma_f32_16x16x32_fp8_fp8 v[120:123], a[48:49], v[80:81], 0// 0000000035D4: D3F30078 0A02A130
	v_mfma_f32_16x16x32_fp8_fp8 v[120:123], a[50:51], v[82:83], v[120:123]// 0000000035DC: D3F30078 0DE2A532
	buffer_load_dwordx4 a[8:11], v23, s[16:19], 0 offen        // 0000000035E4: E05C1000 80840817
	v_mfma_f32_16x16x32_fp8_fp8 v[120:123], a[52:53], v[84:85], v[120:123]// 0000000035EC: D3F30078 0DE2A934
	v_mfma_f32_16x16x32_fp8_fp8 v[120:123], a[54:55], v[86:87], v[120:123]// 0000000035F4: D3F30078 0DE2AD36
	v_mfma_f32_16x16x32_fp8_fp8 v[124:127], a[56:57], v[80:81], 0// 0000000035FC: D3F3007C 0A02A138
	v_mfma_f32_16x16x32_fp8_fp8 v[124:127], a[58:59], v[82:83], v[124:127]// 000000003604: D3F3007C 0DF2A53A
	buffer_load_dwordx4 a[12:15], v23, s[16:19], 0 offen offset:1024// 00000000360C: E05C1400 80840C17
	v_mfma_f32_16x16x32_fp8_fp8 v[124:127], a[60:61], v[84:85], v[124:127]// 000000003614: D3F3007C 0DF2A93C
	v_mfma_f32_16x16x32_fp8_fp8 v[124:127], a[62:63], v[86:87], v[124:127]// 00000000361C: D3F3007C 0DF2AD3E
	buffer_load_dword v42, v2, s[32:35], 0 offen               // 000000003624: E0501000 80082A02
	v_mov_b32_dpp v64, v43 row_shr:4 row_mask:0xf bank_mask:0xf// 00000000362C: 7E8002FA FF01142B
	v_mov_b32_dpp v65, v43 row_shl:4 row_mask:0xf bank_mask:0xf// 000000003634: 7E8202FA FF01042B
	v_cndmask_b32_e64 v248, v43, v64, s[44:45]                 // 00000000363C: D10000F8 00B2812B
	v_cndmask_b32_e64 v249, v65, v43, s[44:45]                 // 000000003644: D10000F9 00B25741
	v_mov_b32_dpp v64, v248 row_shr:8 row_mask:0xf bank_mask:0xf// 00000000364C: 7E8002FA FF0118F8
	v_mov_b32_dpp v65, v248 row_shl:8 row_mask:0xf bank_mask:0xf// 000000003654: 7E8202FA FF0108F8
	v_mov_b32_dpp v66, v249 row_shr:8 row_mask:0xf bank_mask:0xf// 00000000365C: 7E8402FA FF0118F9
	v_mov_b32_dpp v67, v249 row_shl:8 row_mask:0xf bank_mask:0xf// 000000003664: 7E8602FA FF0108F9
	v_mov_b32_e32 v68, v248                                    // 00000000366C: 7E8803F8
	v_mov_b32_e32 v69, v249                                    // 000000003670: 7E8A03F9
	v_cndmask_b32_e64 v248, v68, v64, s[42:43]                 // 000000003674: D10000F8 00AA8144
	v_cndmask_b32_e64 v250, v68, v65, s[78:79]                 // 00000000367C: D10000FA 013A8344
	v_cndmask_b32_e64 v249, v69, v66, s[42:43]                 // 000000003684: D10000F9 00AA8545
	v_cndmask_b32_e64 v251, v69, v67, s[78:79]                 // 00000000368C: D10000FB 013A8745
	v_mov_b32_dpp v64, v58 row_shr:4 row_mask:0xf bank_mask:0xf// 000000003694: 7E8002FA FF01143A
	v_mov_b32_dpp v65, v58 row_shl:4 row_mask:0xf bank_mask:0xf// 00000000369C: 7E8202FA FF01043A
	v_cndmask_b32_e64 v252, v58, v64, s[44:45]                 // 0000000036A4: D10000FC 00B2813A
	v_cndmask_b32_e64 v253, v65, v58, s[44:45]                 // 0000000036AC: D10000FD 00B27541
	v_mov_b32_dpp v64, v252 row_shr:8 row_mask:0xf bank_mask:0xf// 0000000036B4: 7E8002FA FF0118FC
	v_mov_b32_dpp v65, v252 row_shl:8 row_mask:0xf bank_mask:0xf// 0000000036BC: 7E8202FA FF0108FC
	v_mov_b32_dpp v66, v253 row_shr:8 row_mask:0xf bank_mask:0xf// 0000000036C4: 7E8402FA FF0118FD
	v_mov_b32_dpp v67, v253 row_shl:8 row_mask:0xf bank_mask:0xf// 0000000036CC: 7E8602FA FF0108FD
	v_mov_b32_e32 v68, v252                                    // 0000000036D4: 7E8803FC
	v_mov_b32_e32 v69, v253                                    // 0000000036D8: 7E8A03FD
	v_cndmask_b32_e64 v252, v68, v64, s[42:43]                 // 0000000036DC: D10000FC 00AA8144
	v_cndmask_b32_e64 v254, v68, v65, s[78:79]                 // 0000000036E4: D10000FE 013A8344
	v_cndmask_b32_e64 v253, v69, v66, s[42:43]                 // 0000000036EC: D10000FD 00AA8545
	v_cndmask_b32_e64 v255, v69, v67, s[78:79]                 // 0000000036F4: D10000FF 013A8745
	buffer_load_dword v57, v55, s[36:39], 0 offen              // 0000000036FC: E0501000 80093937
	v_mul_f32_e32 v112, v18, v112                              // 000000003704: 0AE0E112
	v_mul_f32_e32 v113, v18, v113                              // 000000003708: 0AE2E312
	v_mul_f32_e32 v114, v18, v114                              // 00000000370C: 0AE4E512
	v_mul_f32_e32 v115, v18, v115                              // 000000003710: 0AE6E712
	v_mul_f32_e32 v116, v18, v116                              // 000000003714: 0AE8E912
	v_mul_f32_e32 v117, v18, v117                              // 000000003718: 0AEAEB12
	v_mul_f32_e32 v118, v18, v118                              // 00000000371C: 0AECED12
	v_mul_f32_e32 v119, v18, v119                              // 000000003720: 0AEEEF12
	v_mul_f32_e32 v120, v18, v120                              // 000000003724: 0AF0F112
	v_mul_f32_e32 v121, v18, v121                              // 000000003728: 0AF2F312
	v_mul_f32_e32 v122, v18, v122                              // 00000000372C: 0AF4F512
	v_mul_f32_e32 v123, v18, v123                              // 000000003730: 0AF6F712
	v_mul_f32_e32 v124, v18, v124                              // 000000003734: 0AF8F912
	v_mul_f32_e32 v125, v18, v125                              // 000000003738: 0AFAFB12
	v_mul_f32_e32 v126, v18, v126                              // 00000000373C: 0AFCFD12
	v_mul_f32_e32 v127, v18, v127                              // 000000003740: 0AFEFF12
	buffer_load_dwordx4 a[16:19], v24, s[16:19], 0 offen       // 000000003744: E05C1000 80841018
	v_mul_f32_dpp v112, v248, v112 quad_perm:[0,0,0,0] row_mask:0xf bank_mask:0xf// 00000000374C: 0AE0E0FA FF0000F8
	v_mul_f32_dpp v113, v248, v113 quad_perm:[1,1,1,1] row_mask:0xf bank_mask:0xf// 000000003754: 0AE2E2FA FF0055F8
	v_mul_f32_dpp v114, v248, v114 quad_perm:[2,2,2,2] row_mask:0xf bank_mask:0xf// 00000000375C: 0AE4E4FA FF00AAF8
	v_mul_f32_dpp v115, v248, v115 quad_perm:[3,3,3,3] row_mask:0xf bank_mask:0xf// 000000003764: 0AE6E6FA FF00FFF8
	v_mul_f32_dpp v116, v249, v116 quad_perm:[0,0,0,0] row_mask:0xf bank_mask:0xf// 00000000376C: 0AE8E8FA FF0000F9
	v_mul_f32_dpp v117, v249, v117 quad_perm:[1,1,1,1] row_mask:0xf bank_mask:0xf// 000000003774: 0AEAEAFA FF0055F9
	v_mul_f32_dpp v118, v249, v118 quad_perm:[2,2,2,2] row_mask:0xf bank_mask:0xf// 00000000377C: 0AECECFA FF00AAF9
	v_mul_f32_dpp v119, v249, v119 quad_perm:[3,3,3,3] row_mask:0xf bank_mask:0xf// 000000003784: 0AEEEEFA FF00FFF9
	v_mul_f32_dpp v120, v250, v120 quad_perm:[0,0,0,0] row_mask:0xf bank_mask:0xf// 00000000378C: 0AF0F0FA FF0000FA
	v_mul_f32_dpp v121, v250, v121 quad_perm:[1,1,1,1] row_mask:0xf bank_mask:0xf// 000000003794: 0AF2F2FA FF0055FA
	v_mul_f32_dpp v122, v250, v122 quad_perm:[2,2,2,2] row_mask:0xf bank_mask:0xf// 00000000379C: 0AF4F4FA FF00AAFA
	v_mul_f32_dpp v123, v250, v123 quad_perm:[3,3,3,3] row_mask:0xf bank_mask:0xf// 0000000037A4: 0AF6F6FA FF00FFFA
	v_mul_f32_dpp v124, v251, v124 quad_perm:[0,0,0,0] row_mask:0xf bank_mask:0xf// 0000000037AC: 0AF8F8FA FF0000FB
	v_mul_f32_dpp v125, v251, v125 quad_perm:[1,1,1,1] row_mask:0xf bank_mask:0xf// 0000000037B4: 0AFAFAFA FF0055FB
	v_mul_f32_dpp v126, v251, v126 quad_perm:[2,2,2,2] row_mask:0xf bank_mask:0xf// 0000000037BC: 0AFCFCFA FF00AAFB
	v_mul_f32_dpp v127, v251, v127 quad_perm:[3,3,3,3] row_mask:0xf bank_mask:0xf// 0000000037C4: 0AFEFEFA FF00FFFB
	buffer_load_dwordx4 a[20:23], v24, s[16:19], 0 offen offset:1024// 0000000037CC: E05C1400 80841418
	s_cmp_le_i32 s90, s89                                      // 0000000037D4: BF05595A
	s_cbranch_scc1 label_05E8                                  // 0000000037D8: BF850071
	v_mov_b32_e32 v66, 0xff800000                              // 0000000037DC: 7E8402FF FF800000
	s_mov_b32 s60, s90                                         // 0000000037E4: BEBC005A
	s_add_u32 s61, s89, 0xff                                   // 0000000037E8: 803DFF59 000000FF
	v_mov_b32_e32 v64, s61                                     // 0000000037F0: 7E80023D
	v_lshrrev_b32_e32 v240, 4, v0                              // 0000000037F4: 21E00084
	v_mul_i32_i24_e32 v240, 4, v240                            // 0000000037F8: 0DE1E084
	v_add_u32_e32 v240, s60, v240                              // 0000000037FC: 69E1E03C
	s_mov_b32 s61, 0                                           // 000000003800: BEBD0080
	s_mul_i32 s60, 16, s7                                      // 000000003804: 923C0790
	v_sub_u32_e64 v240, v240, s61                              // 000000003808: D13500F0 00007BF0
	v_add_u32_e32 v240, s60, v240                              // 000000003810: 69E1E03C
	v_add_u32_e32 v241, 1, v240                                // 000000003814: 69E3E081
	v_add_u32_e32 v242, 2, v240                                // 000000003818: 69E5E082
	v_add_u32_e32 v243, 3, v240                                // 00000000381C: 69E7E083
	v_cmp_le_u32_e64 s[40:41], v240, v64                       // 000000003820: D0CB0028 000281F0
	v_add_u32_e32 v240, 64, v240                               // 000000003828: 69E1E0C0
	s_nop 0                                                    // 00000000382C: BF800000
	v_cndmask_b32_e64 v112, v66, v112, s[40:41]                // 000000003830: D1000070 00A2E142
	v_cmp_le_u32_e64 s[40:41], v241, v64                       // 000000003838: D0CB0028 000281F1
	v_add_u32_e32 v241, 64, v241                               // 000000003840: 69E3E2C0
	s_nop 0                                                    // 000000003844: BF800000
	v_cndmask_b32_e64 v113, v66, v113, s[40:41]                // 000000003848: D1000071 00A2E342
	v_cmp_le_u32_e64 s[40:41], v242, v64                       // 000000003850: D0CB0028 000281F2
	v_add_u32_e32 v242, 64, v242                               // 000000003858: 69E5E4C0
	s_nop 0                                                    // 00000000385C: BF800000
	v_cndmask_b32_e64 v114, v66, v114, s[40:41]                // 000000003860: D1000072 00A2E542
	v_cmp_le_u32_e64 s[40:41], v243, v64                       // 000000003868: D0CB0028 000281F3
	v_add_u32_e32 v243, 64, v243                               // 000000003870: 69E7E6C0
	s_nop 0                                                    // 000000003874: BF800000
	v_cndmask_b32_e64 v115, v66, v115, s[40:41]                // 000000003878: D1000073 00A2E742
	v_cmp_le_u32_e64 s[40:41], v240, v64                       // 000000003880: D0CB0028 000281F0
	v_add_u32_e32 v240, 64, v240                               // 000000003888: 69E1E0C0
	s_nop 0                                                    // 00000000388C: BF800000
	v_cndmask_b32_e64 v116, v66, v116, s[40:41]                // 000000003890: D1000074 00A2E942
	v_cmp_le_u32_e64 s[40:41], v241, v64                       // 000000003898: D0CB0028 000281F1
	v_add_u32_e32 v241, 64, v241                               // 0000000038A0: 69E3E2C0
	s_nop 0                                                    // 0000000038A4: BF800000
	v_cndmask_b32_e64 v117, v66, v117, s[40:41]                // 0000000038A8: D1000075 00A2EB42
	v_cmp_le_u32_e64 s[40:41], v242, v64                       // 0000000038B0: D0CB0028 000281F2
	v_add_u32_e32 v242, 64, v242                               // 0000000038B8: 69E5E4C0
	s_nop 0                                                    // 0000000038BC: BF800000
	v_cndmask_b32_e64 v118, v66, v118, s[40:41]                // 0000000038C0: D1000076 00A2ED42
	v_cmp_le_u32_e64 s[40:41], v243, v64                       // 0000000038C8: D0CB0028 000281F3
	v_add_u32_e32 v243, 64, v243                               // 0000000038D0: 69E7E6C0
	s_nop 0                                                    // 0000000038D4: BF800000
	v_cndmask_b32_e64 v119, v66, v119, s[40:41]                // 0000000038D8: D1000077 00A2EF42
	v_cmp_le_u32_e64 s[40:41], v240, v64                       // 0000000038E0: D0CB0028 000281F0
	v_add_u32_e32 v240, 64, v240                               // 0000000038E8: 69E1E0C0
	s_nop 0                                                    // 0000000038EC: BF800000
	v_cndmask_b32_e64 v120, v66, v120, s[40:41]                // 0000000038F0: D1000078 00A2F142
	v_cmp_le_u32_e64 s[40:41], v241, v64                       // 0000000038F8: D0CB0028 000281F1
	v_add_u32_e32 v241, 64, v241                               // 000000003900: 69E3E2C0
	s_nop 0                                                    // 000000003904: BF800000
	v_cndmask_b32_e64 v121, v66, v121, s[40:41]                // 000000003908: D1000079 00A2F342
	v_cmp_le_u32_e64 s[40:41], v242, v64                       // 000000003910: D0CB0028 000281F2
	v_add_u32_e32 v242, 64, v242                               // 000000003918: 69E5E4C0
	s_nop 0                                                    // 00000000391C: BF800000
	v_cndmask_b32_e64 v122, v66, v122, s[40:41]                // 000000003920: D100007A 00A2F542
	v_cmp_le_u32_e64 s[40:41], v243, v64                       // 000000003928: D0CB0028 000281F3
	v_add_u32_e32 v243, 64, v243                               // 000000003930: 69E7E6C0
	s_nop 0                                                    // 000000003934: BF800000
	v_cndmask_b32_e64 v123, v66, v123, s[40:41]                // 000000003938: D100007B 00A2F742
	v_cmp_le_u32_e64 s[40:41], v240, v64                       // 000000003940: D0CB0028 000281F0
	v_add_u32_e32 v240, 64, v240                               // 000000003948: 69E1E0C0
	s_nop 0                                                    // 00000000394C: BF800000
	v_cndmask_b32_e64 v124, v66, v124, s[40:41]                // 000000003950: D100007C 00A2F942
	v_cmp_le_u32_e64 s[40:41], v241, v64                       // 000000003958: D0CB0028 000281F1
	v_add_u32_e32 v241, 64, v241                               // 000000003960: 69E3E2C0
	s_nop 0                                                    // 000000003964: BF800000
	v_cndmask_b32_e64 v125, v66, v125, s[40:41]                // 000000003968: D100007D 00A2FB42
	v_cmp_le_u32_e64 s[40:41], v242, v64                       // 000000003970: D0CB0028 000281F2
	v_add_u32_e32 v242, 64, v242                               // 000000003978: 69E5E4C0
	s_nop 0                                                    // 00000000397C: BF800000
	v_cndmask_b32_e64 v126, v66, v126, s[40:41]                // 000000003980: D100007E 00A2FD42
	v_cmp_le_u32_e64 s[40:41], v243, v64                       // 000000003988: D0CB0028 000281F3
	v_add_u32_e32 v243, 64, v243                               // 000000003990: 69E7E6C0
	s_nop 0                                                    // 000000003994: BF800000
	v_cndmask_b32_e64 v127, v66, v127, s[40:41]                // 000000003998: D100007F 00A2FF42

00000000000039a0 <label_05E8>:
	s_add_u32 s90, s91, s90                                    // 0000000039A0: 805A5A5B
	v_mov_b32_e32 v48, v112                                    // 0000000039A4: 7E600370
	v_max3_f32 v48, v112, v113, v48                            // 0000000039A8: D1D30030 04C2E370
	v_max3_f32 v48, v114, v115, v48                            // 0000000039B0: D1D30030 04C2E772
	v_max3_f32 v48, v116, v117, v48                            // 0000000039B8: D1D30030 04C2EB74
	v_max3_f32 v48, v118, v119, v48                            // 0000000039C0: D1D30030 04C2EF76
	v_max3_f32 v48, v120, v121, v48                            // 0000000039C8: D1D30030 04C2F378
	v_max3_f32 v48, v122, v123, v48                            // 0000000039D0: D1D30030 04C2F77A
	v_max3_f32 v48, v124, v125, v48                            // 0000000039D8: D1D30030 04C2FB7C
	v_max3_f32 v48, v126, v127, v48                            // 0000000039E0: D1D30030 04C2FF7E
	ds_write_b32 v8, v48 offset:16896                          // 0000000039E8: D81A4200 00003008
	buffer_load_dwordx4 a[24:27], v25, s[16:19], 0 offen       // 0000000039F0: E05C1000 80841819
	v_mul_u32_u24_dpp v64, v16, v54 row_newbcast:1 row_mask:0xf bank_mask:0xf// 0000000039F8: 10806CFA FF015110
	v_mul_u32_u24_dpp v65, v16, v54 row_newbcast:5 row_mask:0xf bank_mask:0xf// 000000003A00: 10826CFA FF015510
	v_mul_u32_u24_dpp v66, v16, v54 row_newbcast:9 row_mask:0xf bank_mask:0xf// 000000003A08: 10846CFA FF015910
	v_mul_u32_u24_dpp v67, v16, v54 row_newbcast:13 row_mask:0xf bank_mask:0xf// 000000003A10: 10866CFA FF015D10
	v_add_u32_e32 v30, v64, v6                                 // 000000003A18: 683C0D40
	v_add_u32_e32 v31, v65, v6                                 // 000000003A1C: 683E0D41
	v_add_u32_e32 v32, v66, v6                                 // 000000003A20: 68400D42
	v_add_u32_e32 v33, v67, v6                                 // 000000003A24: 68420D43
	v_mul_f32_e32 v208, v49, v208                              // 000000003A28: 0BA1A131
	v_mul_f32_e32 v209, v49, v209                              // 000000003A2C: 0BA3A331
	v_mul_f32_e32 v210, v49, v210                              // 000000003A30: 0BA5A531
	v_mul_f32_e32 v211, v49, v211                              // 000000003A34: 0BA7A731
	v_mul_f32_e32 v212, v49, v212                              // 000000003A38: 0BA9A931
	v_mul_f32_e32 v213, v49, v213                              // 000000003A3C: 0BABAB31
	v_mul_f32_e32 v214, v49, v214                              // 000000003A40: 0BADAD31
	v_mul_f32_e32 v215, v49, v215                              // 000000003A44: 0BAFAF31
	s_waitcnt lgkmcnt(0)                                       // 000000003A48: BF8CC07F
	s_barrier                                                  // 000000003A4C: BF8A0000
	ds_read_b32 v64, v7 offset:16896                           // 000000003A50: D86C4200 40000007
	ds_read_b32 v65, v7 offset:16960                           // 000000003A58: D86C4240 41000007
	ds_read_b32 v66, v7 offset:17024                           // 000000003A60: D86C4280 42000007
	ds_read_b32 v67, v7 offset:17088                           // 000000003A68: D86C42C0 43000007
	ds_read_b32 v68, v7 offset:17152                           // 000000003A70: D86C4300 44000007
	ds_read_b32 v69, v7 offset:17216                           // 000000003A78: D86C4340 45000007
	ds_read_b32 v70, v7 offset:17280                           // 000000003A80: D86C4380 46000007
	ds_read_b32 v71, v7 offset:17344                           // 000000003A88: D86C43C0 47000007
	ds_read_b32 v72, v7 offset:17408                           // 000000003A90: D86C4400 48000007
	ds_read_b32 v73, v7 offset:17472                           // 000000003A98: D86C4440 49000007
	ds_read_b32 v74, v7 offset:17536                           // 000000003AA0: D86C4480 4A000007
	ds_read_b32 v75, v7 offset:17600                           // 000000003AA8: D86C44C0 4B000007
	ds_read_b32 v76, v7 offset:17664                           // 000000003AB0: D86C4500 4C000007
	ds_read_b32 v77, v7 offset:17728                           // 000000003AB8: D86C4540 4D000007
	ds_read_b32 v78, v7 offset:17792                           // 000000003AC0: D86C4580 4E000007
	ds_read_b32 v79, v7 offset:17856                           // 000000003AC8: D86C45C0 4F000007
	buffer_load_dwordx4 a[28:31], v25, s[16:19], 0 offen offset:1024// 000000003AD0: E05C1400 80841C19
	v_mul_f32_e32 v176, v44, v176                              // 000000003AD8: 0B61612C
	v_mul_f32_e32 v177, v44, v177                              // 000000003ADC: 0B63632C
	v_mul_f32_e32 v178, v44, v178                              // 000000003AE0: 0B65652C
	v_mul_f32_e32 v179, v44, v179                              // 000000003AE4: 0B67672C
	v_mul_f32_e32 v180, v44, v180                              // 000000003AE8: 0B69692C
	v_mul_f32_e32 v181, v44, v181                              // 000000003AEC: 0B6B6B2C
	v_mul_f32_e32 v182, v44, v182                              // 000000003AF0: 0B6D6D2C
	v_mul_f32_e32 v183, v44, v183                              // 000000003AF4: 0B6F6F2C
	s_waitcnt lgkmcnt(0)                                       // 000000003AF8: BF8CC07F
	v_max3_f32 v48, v64, v65, v48                              // 000000003AFC: D1D30030 04C28340
	v_max3_f32 v48, v66, v67, v48                              // 000000003B04: D1D30030 04C28742
	v_max3_f32 v48, v68, v69, v48                              // 000000003B0C: D1D30030 04C28B44
	v_max3_f32 v48, v70, v71, v48                              // 000000003B14: D1D30030 04C28F46
	v_max3_f32 v48, v72, v73, v48                              // 000000003B1C: D1D30030 04C29348
	v_max3_f32 v48, v74, v75, v48                              // 000000003B24: D1D30030 04C2974A
	v_max3_f32 v48, v76, v77, v48                              // 000000003B2C: D1D30030 04C29B4C
	v_max3_f32 v48, v78, v79, v48                              // 000000003B34: D1D30030 04C29F4E
	buffer_load_dwordx4 a[64:67], v30, s[20:23], 0 offen       // 000000003B3C: E05C1000 8085401E
	v_mov_b32_e32 v64, 0xff800000                              // 000000003B44: 7E8002FF FF800000
	v_cmp_eq_u32_e64 s[40:41], v64, v11                        // 000000003B4C: D0CA0028 00021740
	s_nop 1                                                    // 000000003B54: BF800001
	v_max_f32_e32 v15, v48, v11                                // 000000003B58: 161E1730
	v_mul_f32_e32 v53, s64, v15                                // 000000003B5C: 0A6A1E40
	v_fma_f32 v112, v112, s64, -v53                            // 000000003B60: D1CB0070 84D48170
	v_fma_f32 v113, v113, s64, -v53                            // 000000003B68: D1CB0071 84D48171
	v_fma_f32 v114, v114, s64, -v53                            // 000000003B70: D1CB0072 84D48172
	v_fma_f32 v115, v115, s64, -v53                            // 000000003B78: D1CB0073 84D48173
	v_fma_f32 v116, v116, s64, -v53                            // 000000003B80: D1CB0074 84D48174
	v_fma_f32 v117, v117, s64, -v53                            // 000000003B88: D1CB0075 84D48175
	v_fma_f32 v118, v118, s64, -v53                            // 000000003B90: D1CB0076 84D48176
	v_fma_f32 v119, v119, s64, -v53                            // 000000003B98: D1CB0077 84D48177
	v_fma_f32 v120, v120, s64, -v53                            // 000000003BA0: D1CB0078 84D48178
	v_fma_f32 v121, v121, s64, -v53                            // 000000003BA8: D1CB0079 84D48179
	v_fma_f32 v122, v122, s64, -v53                            // 000000003BB0: D1CB007A 84D4817A
	v_fma_f32 v123, v123, s64, -v53                            // 000000003BB8: D1CB007B 84D4817B
	v_fma_f32 v124, v124, s64, -v53                            // 000000003BC0: D1CB007C 84D4817C
	v_fma_f32 v125, v125, s64, -v53                            // 000000003BC8: D1CB007D 84D4817D
	v_fma_f32 v126, v126, s64, -v53                            // 000000003BD0: D1CB007E 84D4817E
	v_fma_f32 v127, v127, s64, -v53                            // 000000003BD8: D1CB007F 84D4817F
	buffer_load_dwordx4 a[68:71], v31, s[20:23], 0 offen       // 000000003BE0: E05C1000 8085441F
	v_exp_f32_e32 v112, v112                                   // 000000003BE8: 7EE04170
	v_exp_f32_e32 v113, v113                                   // 000000003BEC: 7EE24171
	v_exp_f32_e32 v114, v114                                   // 000000003BF0: 7EE44172
	v_exp_f32_e32 v115, v115                                   // 000000003BF4: 7EE64173
	v_exp_f32_e32 v116, v116                                   // 000000003BF8: 7EE84174
	v_exp_f32_e32 v117, v117                                   // 000000003BFC: 7EEA4175
	v_exp_f32_e32 v118, v118                                   // 000000003C00: 7EEC4176
	v_exp_f32_e32 v119, v119                                   // 000000003C04: 7EEE4177
	v_exp_f32_e32 v120, v120                                   // 000000003C08: 7EF04178
	v_exp_f32_e32 v121, v121                                   // 000000003C0C: 7EF24179
	v_exp_f32_e32 v122, v122                                   // 000000003C10: 7EF4417A
	v_exp_f32_e32 v123, v123                                   // 000000003C14: 7EF6417B
	v_exp_f32_e32 v124, v124                                   // 000000003C18: 7EF8417C
	v_exp_f32_e32 v125, v125                                   // 000000003C1C: 7EFA417D
	v_exp_f32_e32 v126, v126                                   // 000000003C20: 7EFC417E
	v_exp_f32_e32 v127, v127                                   // 000000003C24: 7EFE417F
	buffer_load_dwordx4 a[72:75], v32, s[20:23], 0 offen       // 000000003C28: E05C1000 80854820
	v_mul_f32_dpp v240, v252, v112 quad_perm:[0,0,0,0] row_mask:0xf bank_mask:0xf// 000000003C30: 0BE0E0FA FF0000FC
	v_mul_f32_dpp v241, v252, v113 quad_perm:[1,1,1,1] row_mask:0xf bank_mask:0xf// 000000003C38: 0BE2E2FA FF0055FC
	v_mul_f32_dpp v242, v252, v114 quad_perm:[2,2,2,2] row_mask:0xf bank_mask:0xf// 000000003C40: 0BE4E4FA FF00AAFC
	v_mul_f32_dpp v243, v252, v115 quad_perm:[3,3,3,3] row_mask:0xf bank_mask:0xf// 000000003C48: 0BE6E6FA FF00FFFC
	v_mul_f32_dpp v244, v253, v116 quad_perm:[0,0,0,0] row_mask:0xf bank_mask:0xf// 000000003C50: 0BE8E8FA FF0000FD
	v_mul_f32_dpp v245, v253, v117 quad_perm:[1,1,1,1] row_mask:0xf bank_mask:0xf// 000000003C58: 0BEAEAFA FF0055FD
	v_mul_f32_dpp v246, v253, v118 quad_perm:[2,2,2,2] row_mask:0xf bank_mask:0xf// 000000003C60: 0BECECFA FF00AAFD
	v_mul_f32_dpp v247, v253, v119 quad_perm:[3,3,3,3] row_mask:0xf bank_mask:0xf// 000000003C68: 0BEEEEFA FF00FFFD
	v_mul_f32_dpp v248, v254, v120 quad_perm:[0,0,0,0] row_mask:0xf bank_mask:0xf// 000000003C70: 0BF0F0FA FF0000FE
	v_mul_f32_dpp v249, v254, v121 quad_perm:[1,1,1,1] row_mask:0xf bank_mask:0xf// 000000003C78: 0BF2F2FA FF0055FE
	v_mul_f32_dpp v250, v254, v122 quad_perm:[2,2,2,2] row_mask:0xf bank_mask:0xf// 000000003C80: 0BF4F4FA FF00AAFE
	v_mul_f32_dpp v251, v254, v123 quad_perm:[3,3,3,3] row_mask:0xf bank_mask:0xf// 000000003C88: 0BF6F6FA FF00FFFE
	v_mul_f32_dpp v252, v255, v124 quad_perm:[0,0,0,0] row_mask:0xf bank_mask:0xf// 000000003C90: 0BF8F8FA FF0000FF
	v_mul_f32_dpp v253, v255, v125 quad_perm:[1,1,1,1] row_mask:0xf bank_mask:0xf// 000000003C98: 0BFAFAFA FF0055FF
	v_mul_f32_dpp v254, v255, v126 quad_perm:[2,2,2,2] row_mask:0xf bank_mask:0xf// 000000003CA0: 0BFCFCFA FF00AAFF
	v_mul_f32_dpp v255, v255, v127 quad_perm:[3,3,3,3] row_mask:0xf bank_mask:0xf// 000000003CA8: 0BFEFEFA FF00FFFF
	v_mov_b32_e32 v48, 0x358637bd                              // 000000003CB0: 7E6002FF 358637BD
	v_max3_f32 v48, |v240|, |v241|, v48                        // 000000003CB8: D1D30330 04C3E3F0
	v_max3_f32 v48, |v242|, |v243|, v48                        // 000000003CC0: D1D30330 04C3E7F2
	v_max3_f32 v48, |v244|, |v245|, v48                        // 000000003CC8: D1D30330 04C3EBF4
	v_max3_f32 v48, |v246|, |v247|, v48                        // 000000003CD0: D1D30330 04C3EFF6
	v_max3_f32 v48, |v248|, |v249|, v48                        // 000000003CD8: D1D30330 04C3F3F8
	v_max3_f32 v48, |v250|, |v251|, v48                        // 000000003CE0: D1D30330 04C3F7FA
	v_max3_f32 v48, |v252|, |v253|, v48                        // 000000003CE8: D1D30330 04C3FBFC
	v_max3_f32 v48, |v254|, |v255|, v48                        // 000000003CF0: D1D30330 04C3FFFE
	buffer_load_dwordx4 a[76:79], v33, s[20:23], 0 offen       // 000000003CF8: E05C1000 80854C21
	ds_write_b32 v8, v48 offset:20992                          // 000000003D00: D81A5200 00003008
	v_sub_f32_e32 v49, v11, v15                                // 000000003D08: 04621F0B
	v_cndmask_b32_e64 v49, v49, 0, s[40:41]                    // 000000003D0C: D1000031 00A10131
	v_mov_b32_e32 v11, v15                                     // 000000003D14: 7E16030F
	v_mul_f32_e32 v49, s64, v49                                // 000000003D18: 0A626240
	v_exp_f32_e32 v49, v49                                     // 000000003D1C: 7E624131
	s_waitcnt lgkmcnt(0)                                       // 000000003D20: BF8CC07F
	s_barrier                                                  // 000000003D24: BF8A0000
	ds_read_b32 v64, v7 offset:20992                           // 000000003D28: D86C5200 40000007
	ds_read_b32 v65, v7 offset:21056                           // 000000003D30: D86C5240 41000007
	ds_read_b32 v66, v7 offset:21120                           // 000000003D38: D86C5280 42000007
	ds_read_b32 v67, v7 offset:21184                           // 000000003D40: D86C52C0 43000007
	ds_read_b32 v68, v7 offset:21248                           // 000000003D48: D86C5300 44000007
	ds_read_b32 v69, v7 offset:21312                           // 000000003D50: D86C5340 45000007
	ds_read_b32 v70, v7 offset:21376                           // 000000003D58: D86C5380 46000007
	ds_read_b32 v71, v7 offset:21440                           // 000000003D60: D86C53C0 47000007
	ds_read_b32 v72, v7 offset:21504                           // 000000003D68: D86C5400 48000007
	ds_read_b32 v73, v7 offset:21568                           // 000000003D70: D86C5440 49000007
	ds_read_b32 v74, v7 offset:21632                           // 000000003D78: D86C5480 4A000007
	ds_read_b32 v75, v7 offset:21696                           // 000000003D80: D86C54C0 4B000007
	ds_read_b32 v76, v7 offset:21760                           // 000000003D88: D86C5500 4C000007
	ds_read_b32 v77, v7 offset:21824                           // 000000003D90: D86C5540 4D000007
	ds_read_b32 v78, v7 offset:21888                           // 000000003D98: D86C5580 4E000007
	ds_read_b32 v79, v7 offset:21952                           // 000000003DA0: D86C55C0 4F000007
	v_mul_f32_e32 v38, v49, v38                                // 000000003DA8: 0A4C4D31
	v_mov_b32_e32 v15, v112                                    // 000000003DAC: 7E1E0370
	v_add_f32_e32 v15, v113, v15                               // 000000003DB0: 021E1F71
	v_add_f32_e32 v15, v114, v15                               // 000000003DB4: 021E1F72
	v_add_f32_e32 v15, v115, v15                               // 000000003DB8: 021E1F73
	v_add_f32_e32 v15, v116, v15                               // 000000003DBC: 021E1F74
	v_add_f32_e32 v15, v117, v15                               // 000000003DC0: 021E1F75
	v_add_f32_e32 v15, v118, v15                               // 000000003DC4: 021E1F76
	v_add_f32_e32 v15, v119, v15                               // 000000003DC8: 021E1F77
	v_add_f32_e32 v15, v120, v15                               // 000000003DCC: 021E1F78
	v_add_f32_e32 v15, v121, v15                               // 000000003DD0: 021E1F79
	v_add_f32_e32 v15, v122, v15                               // 000000003DD4: 021E1F7A
	v_add_f32_e32 v15, v123, v15                               // 000000003DD8: 021E1F7B
	v_add_f32_e32 v15, v124, v15                               // 000000003DDC: 021E1F7C
	v_add_f32_e32 v15, v125, v15                               // 000000003DE0: 021E1F7D
	v_add_f32_e32 v15, v126, v15                               // 000000003DE4: 021E1F7E
	v_add_f32_e32 v15, v127, v15                               // 000000003DE8: 021E1F7F
	v_add_f32_e32 v38, v15, v38                                // 000000003DEC: 024C4D0F
	s_waitcnt lgkmcnt(0)                                       // 000000003DF0: BF8CC07F
	v_max3_f32 v48, |v64|, |v65|, v48                          // 000000003DF4: D1D30330 04C28340
	v_max3_f32 v48, |v66|, |v67|, v48                          // 000000003DFC: D1D30330 04C28742
	v_max3_f32 v48, |v68|, |v69|, v48                          // 000000003E04: D1D30330 04C28B44
	v_max3_f32 v48, |v70|, |v71|, v48                          // 000000003E0C: D1D30330 04C28F46
	v_max3_f32 v48, |v72|, |v73|, v48                          // 000000003E14: D1D30330 04C29348
	v_max3_f32 v48, |v74|, |v75|, v48                          // 000000003E1C: D1D30330 04C2974A
	v_max3_f32 v48, |v76|, |v77|, v48                          // 000000003E24: D1D30330 04C29B4C
	v_max3_f32 v48, |v78|, |v79|, v48                          // 000000003E2C: D1D30330 04C29F4E
	s_nop 2                                                    // 000000003E34: BF800002
	v_rcp_f32_e32 v48, v48                                     // 000000003E38: 7E604530
	s_nop 1                                                    // 000000003E3C: BF800001
	v_mul_f32_e32 v48, 0x43700000, v48                         // 000000003E40: 0A6060FF 43700000
	v_mul_f32_e32 v112, v48, v240                              // 000000003E48: 0AE1E130
	v_mul_f32_e32 v113, v48, v241                              // 000000003E4C: 0AE3E330
	v_mul_f32_e32 v114, v48, v242                              // 000000003E50: 0AE5E530
	v_mul_f32_e32 v115, v48, v243                              // 000000003E54: 0AE7E730
	v_mul_f32_e32 v116, v48, v244                              // 000000003E58: 0AE9E930
	v_mul_f32_e32 v117, v48, v245                              // 000000003E5C: 0AEBEB30
	v_mul_f32_e32 v118, v48, v246                              // 000000003E60: 0AEDED30
	v_mul_f32_e32 v119, v48, v247                              // 000000003E64: 0AEFEF30
	v_mul_f32_e32 v120, v48, v248                              // 000000003E68: 0AF1F130
	v_mul_f32_e32 v121, v48, v249                              // 000000003E6C: 0AF3F330
	v_mul_f32_e32 v122, v48, v250                              // 000000003E70: 0AF5F530
	v_mul_f32_e32 v123, v48, v251                              // 000000003E74: 0AF7F730
	v_mul_f32_e32 v124, v48, v252                              // 000000003E78: 0AF9F930
	v_mul_f32_e32 v125, v48, v253                              // 000000003E7C: 0AFBFB30
	v_mul_f32_e32 v126, v48, v254                              // 000000003E80: 0AFDFD30
	v_mul_f32_e32 v127, v48, v255                              // 000000003E84: 0AFFFF30
	v_cvt_pk_fp8_f32 v112, v112, v113                          // 000000003E88: D2A20070 0002E370
	v_cvt_pk_fp8_f32 v112, v114, v115 op_sel:[0,0,1]           // 000000003E90: D2A24070 0002E772
	v_cvt_pk_fp8_f32 v113, v116, v117                          // 000000003E98: D2A20071 0002EB74
	v_cvt_pk_fp8_f32 v113, v118, v119 op_sel:[0,0,1]           // 000000003EA0: D2A24071 0002EF76
	v_cvt_pk_fp8_f32 v114, v120, v121                          // 000000003EA8: D2A20072 0002F378
	v_cvt_pk_fp8_f32 v114, v122, v123 op_sel:[0,0,1]           // 000000003EB0: D2A24072 0002F77A
	v_cvt_pk_fp8_f32 v115, v124, v125                          // 000000003EB8: D2A20073 0002FB7C
	v_cvt_pk_fp8_f32 v115, v126, v127 op_sel:[0,0,1]           // 000000003EC0: D2A24073 0002FF7E
	ds_write_b32 v10, v112 offset:25088                        // 000000003EC8: D81A6200 0000700A
	ds_write_b32 v10, v113 offset:26112                        // 000000003ED0: D81A6600 0000710A
	ds_write_b32 v10, v114 offset:27136                        // 000000003ED8: D81A6A00 0000720A
	ds_write_b32 v10, v115 offset:28160                        // 000000003EE0: D81A6E00 0000730A
	v_add_f32_e32 v208, v208, v176                             // 000000003EE8: 03A161D0
	v_add_f32_e32 v209, v209, v177                             // 000000003EEC: 03A363D1
	v_add_f32_e32 v210, v210, v178                             // 000000003EF0: 03A565D2
	v_add_f32_e32 v211, v211, v179                             // 000000003EF4: 03A767D3
	v_add_f32_e32 v212, v212, v180                             // 000000003EF8: 03A969D4
	v_add_f32_e32 v213, v213, v181                             // 000000003EFC: 03AB6BD5
	v_add_f32_e32 v214, v214, v182                             // 000000003F00: 03AD6DD6
	v_add_f32_e32 v215, v215, v183                             // 000000003F04: 03AF6FD7
	v_rcp_f32_e32 v44, v48                                     // 000000003F08: 7E584530
	s_waitcnt lgkmcnt(0)                                       // 000000003F0C: BF8CC07F
	s_barrier                                                  // 000000003F10: BF8A0000
	ds_read_b64 v[112:113], v9 offset:25088                    // 000000003F14: D8EC6200 70000009
	ds_read_b64 v[114:115], v9 offset:25216                    // 000000003F1C: D8EC6280 72000009
	ds_read_b64 v[116:117], v9 offset:26112                    // 000000003F24: D8EC6600 74000009
	ds_read_b64 v[118:119], v9 offset:26240                    // 000000003F2C: D8EC6680 76000009
	ds_read_b64 v[120:121], v9 offset:27136                    // 000000003F34: D8EC6A00 78000009
	ds_read_b64 v[122:123], v9 offset:27264                    // 000000003F3C: D8EC6A80 7A000009
	ds_read_b64 v[124:125], v9 offset:28160                    // 000000003F44: D8EC6E00 7C000009
	ds_read_b64 v[126:127], v9 offset:28288                    // 000000003F4C: D8EC6E80 7E000009
	s_waitcnt vmcnt(15)                                        // 000000003F54: BF8C0F7F
	s_waitcnt lgkmcnt(7)                                       // 000000003F58: BF8CC77F
	v_mfma_f32_16x16x32_fp8_fp8 v[176:179], a[96:97], v[112:113], 0// 000000003F5C: D3F300B0 0A02E160
	s_waitcnt lgkmcnt(6)                                       // 000000003F64: BF8CC67F
	v_mfma_f32_16x16x32_fp8_fp8 v[176:179], a[98:99], v[114:115], v[176:179]// 000000003F68: D3F300B0 0EC2E562
	buffer_load_dwordx4 a[80:83], v30, s[20:23], 0 offen offset:1024// 000000003F70: E05C1400 8085501E
	s_waitcnt lgkmcnt(5)                                       // 000000003F78: BF8CC57F
	v_mfma_f32_16x16x32_fp8_fp8 v[176:179], a[100:101], v[116:117], v[176:179]// 000000003F7C: D3F300B0 0EC2E964
	s_waitcnt lgkmcnt(4)                                       // 000000003F84: BF8CC47F
	v_mfma_f32_16x16x32_fp8_fp8 v[176:179], a[102:103], v[118:119], v[176:179]// 000000003F88: D3F300B0 0EC2ED66
	s_waitcnt lgkmcnt(3)                                       // 000000003F90: BF8CC37F
	v_mfma_f32_16x16x32_fp8_fp8 v[176:179], a[104:105], v[120:121], v[176:179]// 000000003F94: D3F300B0 0EC2F168
	s_waitcnt lgkmcnt(2)                                       // 000000003F9C: BF8CC27F
	v_mfma_f32_16x16x32_fp8_fp8 v[176:179], a[106:107], v[122:123], v[176:179]// 000000003FA0: D3F300B0 0EC2F56A
	buffer_load_dwordx4 a[84:87], v31, s[20:23], 0 offen offset:1024// 000000003FA8: E05C1400 8085541F
	s_waitcnt lgkmcnt(1)                                       // 000000003FB0: BF8CC17F
	v_mfma_f32_16x16x32_fp8_fp8 v[176:179], a[108:109], v[124:125], v[176:179]// 000000003FB4: D3F300B0 0EC2F96C
	s_waitcnt lgkmcnt(0)                                       // 000000003FBC: BF8CC07F
	v_mfma_f32_16x16x32_fp8_fp8 v[176:179], a[110:111], v[126:127], v[176:179]// 000000003FC0: D3F300B0 0EC2FD6E
	v_mfma_f32_16x16x32_fp8_fp8 v[180:183], a[112:113], v[112:113], 0// 000000003FC8: D3F300B4 0A02E170
	v_mfma_f32_16x16x32_fp8_fp8 v[180:183], a[114:115], v[114:115], v[180:183]// 000000003FD0: D3F300B4 0ED2E572
	buffer_load_dwordx4 a[88:91], v32, s[20:23], 0 offen offset:1024// 000000003FD8: E05C1400 80855820
	v_mfma_f32_16x16x32_fp8_fp8 v[180:183], a[116:117], v[116:117], v[180:183]// 000000003FE0: D3F300B4 0ED2E974
	v_mfma_f32_16x16x32_fp8_fp8 v[180:183], a[118:119], v[118:119], v[180:183]// 000000003FE8: D3F300B4 0ED2ED76
	v_mfma_f32_16x16x32_fp8_fp8 v[180:183], a[120:121], v[120:121], v[180:183]// 000000003FF0: D3F300B4 0ED2F178
	v_mfma_f32_16x16x32_fp8_fp8 v[180:183], a[122:123], v[122:123], v[180:183]// 000000003FF8: D3F300B4 0ED2F57A
	buffer_load_dwordx4 a[92:95], v33, s[20:23], 0 offen offset:1024// 000000004000: E05C1400 80855C21
	v_mfma_f32_16x16x32_fp8_fp8 v[180:183], a[124:125], v[124:125], v[180:183]// 000000004008: D3F300B4 0ED2F97C
	s_lshr_b32 s57, s70, 4                                     // 000000004010: 8F398446
	s_add_u32 s57, 48, s57                                     // 000000004014: 803939B0
	v_mfma_f32_16x16x32_fp8_fp8 v[180:183], a[126:127], v[126:127], v[180:183]// 000000004018: D3F300B4 0ED2FD7E
	s_cmp_ge_u32 s57, s73                                      // 000000004020: BF094939
	s_cselect_b32 s56, 0, s56                                  // 000000004024: 85383880
	v_add_u32_e32 v1, s56, v1                                  // 000000004028: 68020238
	s_addk_i32 s70, 0x100                                      // 00000000402C: B7460100
	s_cmp_lt_i32 s70, s71                                      // 000000004030: BF044746
	s_cbranch_scc0 label_078F                                  // 000000004034: BF840001
	s_branch label_020A                                        // 000000004038: BF82FA7B

000000000000403c <label_078F>:
	s_nop 0                                                    // 00000000403C: BF800000
	s_nop 0                                                    // 000000004040: BF800000
	s_branch label_0D17                                        // 000000004044: BF820585

0000000000004048 <label_0792>:
	s_waitcnt vmcnt(8) lgkmcnt(0)                              // 000000004048: BF8C0078
	v_mul_u32_u24_dpp v64, v17, v54 row_newbcast:0 row_mask:0xf bank_mask:0xf// 00000000404C: 10806CFA FF015011
	v_mul_u32_u24_dpp v65, v17, v54 row_newbcast:4 row_mask:0xf bank_mask:0xf// 000000004054: 10826CFA FF015411
	v_mul_u32_u24_dpp v66, v17, v54 row_newbcast:8 row_mask:0xf bank_mask:0xf// 00000000405C: 10846CFA FF015811
	v_mul_u32_u24_dpp v67, v17, v54 row_newbcast:12 row_mask:0xf bank_mask:0xf// 000000004064: 10866CFA FF015C11
	v_add_u32_e32 v26, v64, v5                                 // 00000000406C: 68340B40
	v_add_u32_e32 v27, v65, v5                                 // 000000004070: 68360B41
	v_add_u32_e32 v28, v66, v5                                 // 000000004074: 68380B42
	v_add_u32_e32 v29, v67, v5                                 // 000000004078: 683A0B43
	v_mul_u32_u24_dpp v64, v17, v63 quad_perm:[0,0,0,0] row_mask:0xf bank_mask:0xf// 00000000407C: 10807EFA FF000011
	v_add_u32_e32 v3, v64, v59                                 // 000000004084: 68067740
	v_mul_u32_u24_dpp v64, v17, v63 quad_perm:[0,0,0,0] row_mask:0xf bank_mask:0xf// 000000004088: 10807EFA FF000011
	v_add_u32_e32 v56, v64, v60                                // 000000004090: 68707940
	v_mfma_f32_16x16x32_fp8_fp8 v[112:115], a[0:1], v[80:81], 0// 000000004094: D3F30070 0A02A100
	buffer_load_dwordx4 a[32:35], v26, s[16:19], 0 offen       // 00000000409C: E05C1000 8084201A
	v_mfma_f32_16x16x32_fp8_fp8 v[112:115], a[2:3], v[82:83], v[112:115]// 0000000040A4: D3F30070 0DC2A502
	v_mfma_f32_16x16x32_fp8_fp8 v[112:115], a[4:5], v[84:85], v[112:115]// 0000000040AC: D3F30070 0DC2A904
	buffer_load_dword v16, v1, s[24:27], 0 offen               // 0000000040B4: E0501000 80061001
	v_mfma_f32_16x16x32_fp8_fp8 v[112:115], a[6:7], v[86:87], v[112:115]// 0000000040BC: D3F30070 0DC2AD06
	v_mfma_f32_16x16x32_fp8_fp8 v[116:119], a[8:9], v[80:81], 0// 0000000040C4: D3F30074 0A02A108
	buffer_load_dwordx4 a[36:39], v26, s[16:19], 0 offen offset:1024// 0000000040CC: E05C1400 8084241A
	v_mfma_f32_16x16x32_fp8_fp8 v[116:119], a[10:11], v[82:83], v[116:119]// 0000000040D4: D3F30074 0DD2A50A
	v_mfma_f32_16x16x32_fp8_fp8 v[116:119], a[12:13], v[84:85], v[116:119]// 0000000040DC: D3F30074 0DD2A90C
	v_mfma_f32_16x16x32_fp8_fp8 v[116:119], a[14:15], v[86:87], v[116:119]// 0000000040E4: D3F30074 0DD2AD0E
	v_mfma_f32_16x16x32_fp8_fp8 v[120:123], a[16:17], v[80:81], 0// 0000000040EC: D3F30078 0A02A110
	buffer_load_dwordx4 a[40:43], v27, s[16:19], 0 offen       // 0000000040F4: E05C1000 8084281B
	v_mfma_f32_16x16x32_fp8_fp8 v[120:123], a[18:19], v[82:83], v[120:123]// 0000000040FC: D3F30078 0DE2A512
	v_mfma_f32_16x16x32_fp8_fp8 v[120:123], a[20:21], v[84:85], v[120:123]// 000000004104: D3F30078 0DE2A914
	v_mfma_f32_16x16x32_fp8_fp8 v[120:123], a[22:23], v[86:87], v[120:123]// 00000000410C: D3F30078 0DE2AD16
	v_mfma_f32_16x16x32_fp8_fp8 v[124:127], a[24:25], v[80:81], 0// 000000004114: D3F3007C 0A02A118
	buffer_load_dwordx4 a[44:47], v27, s[16:19], 0 offen offset:1024// 00000000411C: E05C1400 80842C1B
	v_mfma_f32_16x16x32_fp8_fp8 v[124:127], a[26:27], v[82:83], v[124:127]// 000000004124: D3F3007C 0DF2A51A
	v_mfma_f32_16x16x32_fp8_fp8 v[124:127], a[28:29], v[84:85], v[124:127]// 00000000412C: D3F3007C 0DF2A91C
	v_mfma_f32_16x16x32_fp8_fp8 v[124:127], a[30:31], v[86:87], v[124:127]// 000000004134: D3F3007C 0DF2AD1E
	buffer_load_dword v43, v3, s[32:35], 0 offen               // 00000000413C: E0501000 80082B03
	v_mov_b32_dpp v64, v42 row_shr:4 row_mask:0xf bank_mask:0xf// 000000004144: 7E8002FA FF01142A
	v_mov_b32_dpp v65, v42 row_shl:4 row_mask:0xf bank_mask:0xf// 00000000414C: 7E8202FA FF01042A
	v_cndmask_b32_e64 v248, v42, v64, s[44:45]                 // 000000004154: D10000F8 00B2812A
	v_cndmask_b32_e64 v249, v65, v42, s[44:45]                 // 00000000415C: D10000F9 00B25541
	v_mov_b32_dpp v64, v248 row_shr:8 row_mask:0xf bank_mask:0xf// 000000004164: 7E8002FA FF0118F8
	v_mov_b32_dpp v65, v248 row_shl:8 row_mask:0xf bank_mask:0xf// 00000000416C: 7E8202FA FF0108F8
	v_mov_b32_dpp v66, v249 row_shr:8 row_mask:0xf bank_mask:0xf// 000000004174: 7E8402FA FF0118F9
	v_mov_b32_dpp v67, v249 row_shl:8 row_mask:0xf bank_mask:0xf// 00000000417C: 7E8602FA FF0108F9
	v_mov_b32_e32 v68, v248                                    // 000000004184: 7E8803F8
	v_mov_b32_e32 v69, v249                                    // 000000004188: 7E8A03F9
	v_cndmask_b32_e64 v248, v68, v64, s[42:43]                 // 00000000418C: D10000F8 00AA8144
	v_cndmask_b32_e64 v250, v68, v65, s[78:79]                 // 000000004194: D10000FA 013A8344
	v_cndmask_b32_e64 v249, v69, v66, s[42:43]                 // 00000000419C: D10000F9 00AA8545
	v_cndmask_b32_e64 v251, v69, v67, s[78:79]                 // 0000000041A4: D10000FB 013A8745
	v_mov_b32_dpp v64, v57 row_shr:4 row_mask:0xf bank_mask:0xf// 0000000041AC: 7E8002FA FF011439
	v_mov_b32_dpp v65, v57 row_shl:4 row_mask:0xf bank_mask:0xf// 0000000041B4: 7E8202FA FF010439
	v_cndmask_b32_e64 v252, v57, v64, s[44:45]                 // 0000000041BC: D10000FC 00B28139
	v_cndmask_b32_e64 v253, v65, v57, s[44:45]                 // 0000000041C4: D10000FD 00B27341
	v_mov_b32_dpp v64, v252 row_shr:8 row_mask:0xf bank_mask:0xf// 0000000041CC: 7E8002FA FF0118FC
	v_mov_b32_dpp v65, v252 row_shl:8 row_mask:0xf bank_mask:0xf// 0000000041D4: 7E8202FA FF0108FC
	v_mov_b32_dpp v66, v253 row_shr:8 row_mask:0xf bank_mask:0xf// 0000000041DC: 7E8402FA FF0118FD
	v_mov_b32_dpp v67, v253 row_shl:8 row_mask:0xf bank_mask:0xf// 0000000041E4: 7E8602FA FF0108FD
	v_mov_b32_e32 v68, v252                                    // 0000000041EC: 7E8803FC
	v_mov_b32_e32 v69, v253                                    // 0000000041F0: 7E8A03FD
	v_cndmask_b32_e64 v252, v68, v64, s[42:43]                 // 0000000041F4: D10000FC 00AA8144
	v_cndmask_b32_e64 v254, v68, v65, s[78:79]                 // 0000000041FC: D10000FE 013A8344
	v_cndmask_b32_e64 v253, v69, v66, s[42:43]                 // 000000004204: D10000FD 00AA8545
	v_cndmask_b32_e64 v255, v69, v67, s[78:79]                 // 00000000420C: D10000FF 013A8745
	buffer_load_dword v58, v56, s[36:39], 0 offen              // 000000004214: E0501000 80093A38
	v_mul_f32_e32 v112, v18, v112                              // 00000000421C: 0AE0E112
	v_mul_f32_e32 v113, v18, v113                              // 000000004220: 0AE2E312
	v_mul_f32_e32 v114, v18, v114                              // 000000004224: 0AE4E512
	v_mul_f32_e32 v115, v18, v115                              // 000000004228: 0AE6E712
	v_mul_f32_e32 v116, v18, v116                              // 00000000422C: 0AE8E912
	v_mul_f32_e32 v117, v18, v117                              // 000000004230: 0AEAEB12
	v_mul_f32_e32 v118, v18, v118                              // 000000004234: 0AECED12
	v_mul_f32_e32 v119, v18, v119                              // 000000004238: 0AEEEF12
	v_mul_f32_e32 v120, v18, v120                              // 00000000423C: 0AF0F112
	v_mul_f32_e32 v121, v18, v121                              // 000000004240: 0AF2F312
	v_mul_f32_e32 v122, v18, v122                              // 000000004244: 0AF4F512
	v_mul_f32_e32 v123, v18, v123                              // 000000004248: 0AF6F712
	v_mul_f32_e32 v124, v18, v124                              // 00000000424C: 0AF8F912
	v_mul_f32_e32 v125, v18, v125                              // 000000004250: 0AFAFB12
	v_mul_f32_e32 v126, v18, v126                              // 000000004254: 0AFCFD12
	v_mul_f32_e32 v127, v18, v127                              // 000000004258: 0AFEFF12
	buffer_load_dwordx4 a[48:51], v28, s[16:19], 0 offen       // 00000000425C: E05C1000 8084301C
	v_mul_f32_dpp v112, v248, v112 quad_perm:[0,0,0,0] row_mask:0xf bank_mask:0xf// 000000004264: 0AE0E0FA FF0000F8
	v_mul_f32_dpp v113, v248, v113 quad_perm:[1,1,1,1] row_mask:0xf bank_mask:0xf// 00000000426C: 0AE2E2FA FF0055F8
	v_mul_f32_dpp v114, v248, v114 quad_perm:[2,2,2,2] row_mask:0xf bank_mask:0xf// 000000004274: 0AE4E4FA FF00AAF8
	v_mul_f32_dpp v115, v248, v115 quad_perm:[3,3,3,3] row_mask:0xf bank_mask:0xf// 00000000427C: 0AE6E6FA FF00FFF8
	v_mul_f32_dpp v116, v249, v116 quad_perm:[0,0,0,0] row_mask:0xf bank_mask:0xf// 000000004284: 0AE8E8FA FF0000F9
	v_mul_f32_dpp v117, v249, v117 quad_perm:[1,1,1,1] row_mask:0xf bank_mask:0xf// 00000000428C: 0AEAEAFA FF0055F9
	v_mul_f32_dpp v118, v249, v118 quad_perm:[2,2,2,2] row_mask:0xf bank_mask:0xf// 000000004294: 0AECECFA FF00AAF9
	v_mul_f32_dpp v119, v249, v119 quad_perm:[3,3,3,3] row_mask:0xf bank_mask:0xf// 00000000429C: 0AEEEEFA FF00FFF9
	v_mul_f32_dpp v120, v250, v120 quad_perm:[0,0,0,0] row_mask:0xf bank_mask:0xf// 0000000042A4: 0AF0F0FA FF0000FA
	v_mul_f32_dpp v121, v250, v121 quad_perm:[1,1,1,1] row_mask:0xf bank_mask:0xf// 0000000042AC: 0AF2F2FA FF0055FA
	v_mul_f32_dpp v122, v250, v122 quad_perm:[2,2,2,2] row_mask:0xf bank_mask:0xf// 0000000042B4: 0AF4F4FA FF00AAFA
	v_mul_f32_dpp v123, v250, v123 quad_perm:[3,3,3,3] row_mask:0xf bank_mask:0xf// 0000000042BC: 0AF6F6FA FF00FFFA
	v_mul_f32_dpp v124, v251, v124 quad_perm:[0,0,0,0] row_mask:0xf bank_mask:0xf// 0000000042C4: 0AF8F8FA FF0000FB
	v_mul_f32_dpp v125, v251, v125 quad_perm:[1,1,1,1] row_mask:0xf bank_mask:0xf// 0000000042CC: 0AFAFAFA FF0055FB
	v_mul_f32_dpp v126, v251, v126 quad_perm:[2,2,2,2] row_mask:0xf bank_mask:0xf// 0000000042D4: 0AFCFCFA FF00AAFB
	v_mul_f32_dpp v127, v251, v127 quad_perm:[3,3,3,3] row_mask:0xf bank_mask:0xf// 0000000042DC: 0AFEFEFA FF00FFFB
	buffer_load_dwordx4 a[52:55], v28, s[16:19], 0 offen offset:1024// 0000000042E4: E05C1400 8084341C
	s_cmp_le_i32 s90, s89                                      // 0000000042EC: BF05595A
	s_cbranch_scc1 label_08AE                                  // 0000000042F0: BF850071
	v_mov_b32_e32 v66, 0xff800000                              // 0000000042F4: 7E8402FF FF800000
	s_mov_b32 s60, s90                                         // 0000000042FC: BEBC005A
	s_add_u32 s61, s89, 0xff                                   // 000000004300: 803DFF59 000000FF
	v_mov_b32_e32 v64, s61                                     // 000000004308: 7E80023D
	v_lshrrev_b32_e32 v240, 4, v0                              // 00000000430C: 21E00084
	v_mul_i32_i24_e32 v240, 4, v240                            // 000000004310: 0DE1E084
	v_add_u32_e32 v240, s60, v240                              // 000000004314: 69E1E03C
	s_mov_b32 s61, 0                                           // 000000004318: BEBD0080
	s_mul_i32 s60, 16, s7                                      // 00000000431C: 923C0790
	v_sub_u32_e64 v240, v240, s61                              // 000000004320: D13500F0 00007BF0
	v_add_u32_e32 v240, s60, v240                              // 000000004328: 69E1E03C
	v_add_u32_e32 v241, 1, v240                                // 00000000432C: 69E3E081
	v_add_u32_e32 v242, 2, v240                                // 000000004330: 69E5E082
	v_add_u32_e32 v243, 3, v240                                // 000000004334: 69E7E083
	v_cmp_le_u32_e64 s[40:41], v240, v64                       // 000000004338: D0CB0028 000281F0
	v_add_u32_e32 v240, 64, v240                               // 000000004340: 69E1E0C0
	s_nop 0                                                    // 000000004344: BF800000
	v_cndmask_b32_e64 v112, v66, v112, s[40:41]                // 000000004348: D1000070 00A2E142
	v_cmp_le_u32_e64 s[40:41], v241, v64                       // 000000004350: D0CB0028 000281F1
	v_add_u32_e32 v241, 64, v241                               // 000000004358: 69E3E2C0
	s_nop 0                                                    // 00000000435C: BF800000
	v_cndmask_b32_e64 v113, v66, v113, s[40:41]                // 000000004360: D1000071 00A2E342
	v_cmp_le_u32_e64 s[40:41], v242, v64                       // 000000004368: D0CB0028 000281F2
	v_add_u32_e32 v242, 64, v242                               // 000000004370: 69E5E4C0
	s_nop 0                                                    // 000000004374: BF800000
	v_cndmask_b32_e64 v114, v66, v114, s[40:41]                // 000000004378: D1000072 00A2E542
	v_cmp_le_u32_e64 s[40:41], v243, v64                       // 000000004380: D0CB0028 000281F3
	v_add_u32_e32 v243, 64, v243                               // 000000004388: 69E7E6C0
	s_nop 0                                                    // 00000000438C: BF800000
	v_cndmask_b32_e64 v115, v66, v115, s[40:41]                // 000000004390: D1000073 00A2E742
	v_cmp_le_u32_e64 s[40:41], v240, v64                       // 000000004398: D0CB0028 000281F0
	v_add_u32_e32 v240, 64, v240                               // 0000000043A0: 69E1E0C0
	s_nop 0                                                    // 0000000043A4: BF800000
	v_cndmask_b32_e64 v116, v66, v116, s[40:41]                // 0000000043A8: D1000074 00A2E942
	v_cmp_le_u32_e64 s[40:41], v241, v64                       // 0000000043B0: D0CB0028 000281F1
	v_add_u32_e32 v241, 64, v241                               // 0000000043B8: 69E3E2C0
	s_nop 0                                                    // 0000000043BC: BF800000
	v_cndmask_b32_e64 v117, v66, v117, s[40:41]                // 0000000043C0: D1000075 00A2EB42
	v_cmp_le_u32_e64 s[40:41], v242, v64                       // 0000000043C8: D0CB0028 000281F2
	v_add_u32_e32 v242, 64, v242                               // 0000000043D0: 69E5E4C0
	s_nop 0                                                    // 0000000043D4: BF800000
	v_cndmask_b32_e64 v118, v66, v118, s[40:41]                // 0000000043D8: D1000076 00A2ED42
	v_cmp_le_u32_e64 s[40:41], v243, v64                       // 0000000043E0: D0CB0028 000281F3
	v_add_u32_e32 v243, 64, v243                               // 0000000043E8: 69E7E6C0
	s_nop 0                                                    // 0000000043EC: BF800000
	v_cndmask_b32_e64 v119, v66, v119, s[40:41]                // 0000000043F0: D1000077 00A2EF42
	v_cmp_le_u32_e64 s[40:41], v240, v64                       // 0000000043F8: D0CB0028 000281F0
	v_add_u32_e32 v240, 64, v240                               // 000000004400: 69E1E0C0
	s_nop 0                                                    // 000000004404: BF800000
	v_cndmask_b32_e64 v120, v66, v120, s[40:41]                // 000000004408: D1000078 00A2F142
	v_cmp_le_u32_e64 s[40:41], v241, v64                       // 000000004410: D0CB0028 000281F1
	v_add_u32_e32 v241, 64, v241                               // 000000004418: 69E3E2C0
	s_nop 0                                                    // 00000000441C: BF800000
	v_cndmask_b32_e64 v121, v66, v121, s[40:41]                // 000000004420: D1000079 00A2F342
	v_cmp_le_u32_e64 s[40:41], v242, v64                       // 000000004428: D0CB0028 000281F2
	v_add_u32_e32 v242, 64, v242                               // 000000004430: 69E5E4C0
	s_nop 0                                                    // 000000004434: BF800000
	v_cndmask_b32_e64 v122, v66, v122, s[40:41]                // 000000004438: D100007A 00A2F542
	v_cmp_le_u32_e64 s[40:41], v243, v64                       // 000000004440: D0CB0028 000281F3
	v_add_u32_e32 v243, 64, v243                               // 000000004448: 69E7E6C0
	s_nop 0                                                    // 00000000444C: BF800000
	v_cndmask_b32_e64 v123, v66, v123, s[40:41]                // 000000004450: D100007B 00A2F742
	v_cmp_le_u32_e64 s[40:41], v240, v64                       // 000000004458: D0CB0028 000281F0
	v_add_u32_e32 v240, 64, v240                               // 000000004460: 69E1E0C0
	s_nop 0                                                    // 000000004464: BF800000
	v_cndmask_b32_e64 v124, v66, v124, s[40:41]                // 000000004468: D100007C 00A2F942
	v_cmp_le_u32_e64 s[40:41], v241, v64                       // 000000004470: D0CB0028 000281F1
	v_add_u32_e32 v241, 64, v241                               // 000000004478: 69E3E2C0
	s_nop 0                                                    // 00000000447C: BF800000
	v_cndmask_b32_e64 v125, v66, v125, s[40:41]                // 000000004480: D100007D 00A2FB42
	v_cmp_le_u32_e64 s[40:41], v242, v64                       // 000000004488: D0CB0028 000281F2
	v_add_u32_e32 v242, 64, v242                               // 000000004490: 69E5E4C0
	s_nop 0                                                    // 000000004494: BF800000
	v_cndmask_b32_e64 v126, v66, v126, s[40:41]                // 000000004498: D100007E 00A2FD42
	v_cmp_le_u32_e64 s[40:41], v243, v64                       // 0000000044A0: D0CB0028 000281F3
	v_add_u32_e32 v243, 64, v243                               // 0000000044A8: 69E7E6C0
	s_nop 0                                                    // 0000000044AC: BF800000
	v_cndmask_b32_e64 v127, v66, v127, s[40:41]                // 0000000044B0: D100007F 00A2FF42

00000000000044b8 <label_08AE>:
	s_add_u32 s90, s91, s90                                    // 0000000044B8: 805A5A5B
	v_mov_b32_e32 v48, v112                                    // 0000000044BC: 7E600370
	v_max3_f32 v48, v112, v113, v48                            // 0000000044C0: D1D30030 04C2E370
	v_max3_f32 v48, v114, v115, v48                            // 0000000044C8: D1D30030 04C2E772
	v_max3_f32 v48, v116, v117, v48                            // 0000000044D0: D1D30030 04C2EB74
	v_max3_f32 v48, v118, v119, v48                            // 0000000044D8: D1D30030 04C2EF76
	v_max3_f32 v48, v120, v121, v48                            // 0000000044E0: D1D30030 04C2F378
	v_max3_f32 v48, v122, v123, v48                            // 0000000044E8: D1D30030 04C2F77A
	v_max3_f32 v48, v124, v125, v48                            // 0000000044F0: D1D30030 04C2FB7C
	v_max3_f32 v48, v126, v127, v48                            // 0000000044F8: D1D30030 04C2FF7E
	ds_write_b32 v8, v48 offset:16896                          // 000000004500: D81A4200 00003008
	buffer_load_dwordx4 a[56:59], v29, s[16:19], 0 offen       // 000000004508: E05C1000 8084381D
	v_mul_u32_u24_dpp v64, v17, v54 row_newbcast:1 row_mask:0xf bank_mask:0xf// 000000004510: 10806CFA FF015111
	v_mul_u32_u24_dpp v65, v17, v54 row_newbcast:5 row_mask:0xf bank_mask:0xf// 000000004518: 10826CFA FF015511
	v_mul_u32_u24_dpp v66, v17, v54 row_newbcast:9 row_mask:0xf bank_mask:0xf// 000000004520: 10846CFA FF015911
	v_mul_u32_u24_dpp v67, v17, v54 row_newbcast:13 row_mask:0xf bank_mask:0xf// 000000004528: 10866CFA FF015D11
	v_add_u32_e32 v34, v64, v6                                 // 000000004530: 68440D40
	v_add_u32_e32 v35, v65, v6                                 // 000000004534: 68460D41
	v_add_u32_e32 v36, v66, v6                                 // 000000004538: 68480D42
	v_add_u32_e32 v37, v67, v6                                 // 00000000453C: 684A0D43
	v_mul_f32_e32 v208, v49, v208                              // 000000004540: 0BA1A131
	v_mul_f32_e32 v209, v49, v209                              // 000000004544: 0BA3A331
	v_mul_f32_e32 v210, v49, v210                              // 000000004548: 0BA5A531
	v_mul_f32_e32 v211, v49, v211                              // 00000000454C: 0BA7A731
	v_mul_f32_e32 v212, v49, v212                              // 000000004550: 0BA9A931
	v_mul_f32_e32 v213, v49, v213                              // 000000004554: 0BABAB31
	v_mul_f32_e32 v214, v49, v214                              // 000000004558: 0BADAD31
	v_mul_f32_e32 v215, v49, v215                              // 00000000455C: 0BAFAF31
	s_waitcnt lgkmcnt(0)                                       // 000000004560: BF8CC07F
	s_barrier                                                  // 000000004564: BF8A0000
	ds_read_b32 v64, v7 offset:16896                           // 000000004568: D86C4200 40000007
	ds_read_b32 v65, v7 offset:16960                           // 000000004570: D86C4240 41000007
	ds_read_b32 v66, v7 offset:17024                           // 000000004578: D86C4280 42000007
	ds_read_b32 v67, v7 offset:17088                           // 000000004580: D86C42C0 43000007
	ds_read_b32 v68, v7 offset:17152                           // 000000004588: D86C4300 44000007
	ds_read_b32 v69, v7 offset:17216                           // 000000004590: D86C4340 45000007
	ds_read_b32 v70, v7 offset:17280                           // 000000004598: D86C4380 46000007
	ds_read_b32 v71, v7 offset:17344                           // 0000000045A0: D86C43C0 47000007
	ds_read_b32 v72, v7 offset:17408                           // 0000000045A8: D86C4400 48000007
	ds_read_b32 v73, v7 offset:17472                           // 0000000045B0: D86C4440 49000007
	ds_read_b32 v74, v7 offset:17536                           // 0000000045B8: D86C4480 4A000007
	ds_read_b32 v75, v7 offset:17600                           // 0000000045C0: D86C44C0 4B000007
	ds_read_b32 v76, v7 offset:17664                           // 0000000045C8: D86C4500 4C000007
	ds_read_b32 v77, v7 offset:17728                           // 0000000045D0: D86C4540 4D000007
	ds_read_b32 v78, v7 offset:17792                           // 0000000045D8: D86C4580 4E000007
	ds_read_b32 v79, v7 offset:17856                           // 0000000045E0: D86C45C0 4F000007
	buffer_load_dwordx4 a[60:63], v29, s[16:19], 0 offen offset:1024// 0000000045E8: E05C1400 80843C1D
	v_mul_f32_e32 v176, v44, v176                              // 0000000045F0: 0B61612C
	v_mul_f32_e32 v177, v44, v177                              // 0000000045F4: 0B63632C
	v_mul_f32_e32 v178, v44, v178                              // 0000000045F8: 0B65652C
	v_mul_f32_e32 v179, v44, v179                              // 0000000045FC: 0B67672C
	v_mul_f32_e32 v180, v44, v180                              // 000000004600: 0B69692C
	v_mul_f32_e32 v181, v44, v181                              // 000000004604: 0B6B6B2C
	v_mul_f32_e32 v182, v44, v182                              // 000000004608: 0B6D6D2C
	v_mul_f32_e32 v183, v44, v183                              // 00000000460C: 0B6F6F2C
	s_waitcnt lgkmcnt(0)                                       // 000000004610: BF8CC07F
	v_max3_f32 v48, v64, v65, v48                              // 000000004614: D1D30030 04C28340
	v_max3_f32 v48, v66, v67, v48                              // 00000000461C: D1D30030 04C28742
	v_max3_f32 v48, v68, v69, v48                              // 000000004624: D1D30030 04C28B44
	v_max3_f32 v48, v70, v71, v48                              // 00000000462C: D1D30030 04C28F46
	v_max3_f32 v48, v72, v73, v48                              // 000000004634: D1D30030 04C29348
	v_max3_f32 v48, v74, v75, v48                              // 00000000463C: D1D30030 04C2974A
	v_max3_f32 v48, v76, v77, v48                              // 000000004644: D1D30030 04C29B4C
	v_max3_f32 v48, v78, v79, v48                              // 00000000464C: D1D30030 04C29F4E
	buffer_load_dwordx4 a[96:99], v34, s[20:23], 0 offen       // 000000004654: E05C1000 80856022
	v_mov_b32_e32 v64, 0xff800000                              // 00000000465C: 7E8002FF FF800000
	v_cmp_eq_u32_e64 s[40:41], v64, v11                        // 000000004664: D0CA0028 00021740
	s_nop 1                                                    // 00000000466C: BF800001
	v_max_f32_e32 v15, v48, v11                                // 000000004670: 161E1730
	v_mul_f32_e32 v53, s64, v15                                // 000000004674: 0A6A1E40
	v_fma_f32 v112, v112, s64, -v53                            // 000000004678: D1CB0070 84D48170
	v_fma_f32 v113, v113, s64, -v53                            // 000000004680: D1CB0071 84D48171
	v_fma_f32 v114, v114, s64, -v53                            // 000000004688: D1CB0072 84D48172
	v_fma_f32 v115, v115, s64, -v53                            // 000000004690: D1CB0073 84D48173
	v_fma_f32 v116, v116, s64, -v53                            // 000000004698: D1CB0074 84D48174
	v_fma_f32 v117, v117, s64, -v53                            // 0000000046A0: D1CB0075 84D48175
	v_fma_f32 v118, v118, s64, -v53                            // 0000000046A8: D1CB0076 84D48176
	v_fma_f32 v119, v119, s64, -v53                            // 0000000046B0: D1CB0077 84D48177
	v_fma_f32 v120, v120, s64, -v53                            // 0000000046B8: D1CB0078 84D48178
	v_fma_f32 v121, v121, s64, -v53                            // 0000000046C0: D1CB0079 84D48179
	v_fma_f32 v122, v122, s64, -v53                            // 0000000046C8: D1CB007A 84D4817A
	v_fma_f32 v123, v123, s64, -v53                            // 0000000046D0: D1CB007B 84D4817B
	v_fma_f32 v124, v124, s64, -v53                            // 0000000046D8: D1CB007C 84D4817C
	v_fma_f32 v125, v125, s64, -v53                            // 0000000046E0: D1CB007D 84D4817D
	v_fma_f32 v126, v126, s64, -v53                            // 0000000046E8: D1CB007E 84D4817E
	v_fma_f32 v127, v127, s64, -v53                            // 0000000046F0: D1CB007F 84D4817F
	buffer_load_dwordx4 a[100:103], v35, s[20:23], 0 offen     // 0000000046F8: E05C1000 80856423
	v_exp_f32_e32 v112, v112                                   // 000000004700: 7EE04170
	v_exp_f32_e32 v113, v113                                   // 000000004704: 7EE24171
	v_exp_f32_e32 v114, v114                                   // 000000004708: 7EE44172
	v_exp_f32_e32 v115, v115                                   // 00000000470C: 7EE64173
	v_exp_f32_e32 v116, v116                                   // 000000004710: 7EE84174
	v_exp_f32_e32 v117, v117                                   // 000000004714: 7EEA4175
	v_exp_f32_e32 v118, v118                                   // 000000004718: 7EEC4176
	v_exp_f32_e32 v119, v119                                   // 00000000471C: 7EEE4177
	v_exp_f32_e32 v120, v120                                   // 000000004720: 7EF04178
	v_exp_f32_e32 v121, v121                                   // 000000004724: 7EF24179
	v_exp_f32_e32 v122, v122                                   // 000000004728: 7EF4417A
	v_exp_f32_e32 v123, v123                                   // 00000000472C: 7EF6417B
	v_exp_f32_e32 v124, v124                                   // 000000004730: 7EF8417C
	v_exp_f32_e32 v125, v125                                   // 000000004734: 7EFA417D
	v_exp_f32_e32 v126, v126                                   // 000000004738: 7EFC417E
	v_exp_f32_e32 v127, v127                                   // 00000000473C: 7EFE417F
	buffer_load_dwordx4 a[104:107], v36, s[20:23], 0 offen     // 000000004740: E05C1000 80856824
	v_mul_f32_dpp v240, v252, v112 quad_perm:[0,0,0,0] row_mask:0xf bank_mask:0xf// 000000004748: 0BE0E0FA FF0000FC
	v_mul_f32_dpp v241, v252, v113 quad_perm:[1,1,1,1] row_mask:0xf bank_mask:0xf// 000000004750: 0BE2E2FA FF0055FC
	v_mul_f32_dpp v242, v252, v114 quad_perm:[2,2,2,2] row_mask:0xf bank_mask:0xf// 000000004758: 0BE4E4FA FF00AAFC
	v_mul_f32_dpp v243, v252, v115 quad_perm:[3,3,3,3] row_mask:0xf bank_mask:0xf// 000000004760: 0BE6E6FA FF00FFFC
	v_mul_f32_dpp v244, v253, v116 quad_perm:[0,0,0,0] row_mask:0xf bank_mask:0xf// 000000004768: 0BE8E8FA FF0000FD
	v_mul_f32_dpp v245, v253, v117 quad_perm:[1,1,1,1] row_mask:0xf bank_mask:0xf// 000000004770: 0BEAEAFA FF0055FD
	v_mul_f32_dpp v246, v253, v118 quad_perm:[2,2,2,2] row_mask:0xf bank_mask:0xf// 000000004778: 0BECECFA FF00AAFD
	v_mul_f32_dpp v247, v253, v119 quad_perm:[3,3,3,3] row_mask:0xf bank_mask:0xf// 000000004780: 0BEEEEFA FF00FFFD
	v_mul_f32_dpp v248, v254, v120 quad_perm:[0,0,0,0] row_mask:0xf bank_mask:0xf// 000000004788: 0BF0F0FA FF0000FE
	v_mul_f32_dpp v249, v254, v121 quad_perm:[1,1,1,1] row_mask:0xf bank_mask:0xf// 000000004790: 0BF2F2FA FF0055FE
	v_mul_f32_dpp v250, v254, v122 quad_perm:[2,2,2,2] row_mask:0xf bank_mask:0xf// 000000004798: 0BF4F4FA FF00AAFE
	v_mul_f32_dpp v251, v254, v123 quad_perm:[3,3,3,3] row_mask:0xf bank_mask:0xf// 0000000047A0: 0BF6F6FA FF00FFFE
	v_mul_f32_dpp v252, v255, v124 quad_perm:[0,0,0,0] row_mask:0xf bank_mask:0xf// 0000000047A8: 0BF8F8FA FF0000FF
	v_mul_f32_dpp v253, v255, v125 quad_perm:[1,1,1,1] row_mask:0xf bank_mask:0xf// 0000000047B0: 0BFAFAFA FF0055FF
	v_mul_f32_dpp v254, v255, v126 quad_perm:[2,2,2,2] row_mask:0xf bank_mask:0xf// 0000000047B8: 0BFCFCFA FF00AAFF
	v_mul_f32_dpp v255, v255, v127 quad_perm:[3,3,3,3] row_mask:0xf bank_mask:0xf// 0000000047C0: 0BFEFEFA FF00FFFF
	v_mov_b32_e32 v48, 0x358637bd                              // 0000000047C8: 7E6002FF 358637BD
	v_max3_f32 v48, |v240|, |v241|, v48                        // 0000000047D0: D1D30330 04C3E3F0
	v_max3_f32 v48, |v242|, |v243|, v48                        // 0000000047D8: D1D30330 04C3E7F2
	v_max3_f32 v48, |v244|, |v245|, v48                        // 0000000047E0: D1D30330 04C3EBF4
	v_max3_f32 v48, |v246|, |v247|, v48                        // 0000000047E8: D1D30330 04C3EFF6
	v_max3_f32 v48, |v248|, |v249|, v48                        // 0000000047F0: D1D30330 04C3F3F8
	v_max3_f32 v48, |v250|, |v251|, v48                        // 0000000047F8: D1D30330 04C3F7FA
	v_max3_f32 v48, |v252|, |v253|, v48                        // 000000004800: D1D30330 04C3FBFC
	v_max3_f32 v48, |v254|, |v255|, v48                        // 000000004808: D1D30330 04C3FFFE
	buffer_load_dwordx4 a[108:111], v37, s[20:23], 0 offen     // 000000004810: E05C1000 80856C25
	ds_write_b32 v8, v48 offset:20992                          // 000000004818: D81A5200 00003008
	v_sub_f32_e32 v49, v11, v15                                // 000000004820: 04621F0B
	v_cndmask_b32_e64 v49, v49, 0, s[40:41]                    // 000000004824: D1000031 00A10131
	v_mov_b32_e32 v11, v15                                     // 00000000482C: 7E16030F
	v_mul_f32_e32 v49, s64, v49                                // 000000004830: 0A626240
	v_exp_f32_e32 v49, v49                                     // 000000004834: 7E624131
	s_waitcnt lgkmcnt(0)                                       // 000000004838: BF8CC07F
	s_barrier                                                  // 00000000483C: BF8A0000
	ds_read_b32 v64, v7 offset:20992                           // 000000004840: D86C5200 40000007
	ds_read_b32 v65, v7 offset:21056                           // 000000004848: D86C5240 41000007
	ds_read_b32 v66, v7 offset:21120                           // 000000004850: D86C5280 42000007
	ds_read_b32 v67, v7 offset:21184                           // 000000004858: D86C52C0 43000007
	ds_read_b32 v68, v7 offset:21248                           // 000000004860: D86C5300 44000007
	ds_read_b32 v69, v7 offset:21312                           // 000000004868: D86C5340 45000007
	ds_read_b32 v70, v7 offset:21376                           // 000000004870: D86C5380 46000007
	ds_read_b32 v71, v7 offset:21440                           // 000000004878: D86C53C0 47000007
	ds_read_b32 v72, v7 offset:21504                           // 000000004880: D86C5400 48000007
	ds_read_b32 v73, v7 offset:21568                           // 000000004888: D86C5440 49000007
	ds_read_b32 v74, v7 offset:21632                           // 000000004890: D86C5480 4A000007
	ds_read_b32 v75, v7 offset:21696                           // 000000004898: D86C54C0 4B000007
	ds_read_b32 v76, v7 offset:21760                           // 0000000048A0: D86C5500 4C000007
	ds_read_b32 v77, v7 offset:21824                           // 0000000048A8: D86C5540 4D000007
	ds_read_b32 v78, v7 offset:21888                           // 0000000048B0: D86C5580 4E000007
	ds_read_b32 v79, v7 offset:21952                           // 0000000048B8: D86C55C0 4F000007
	v_mul_f32_e32 v38, v49, v38                                // 0000000048C0: 0A4C4D31
	v_mov_b32_e32 v15, v112                                    // 0000000048C4: 7E1E0370
	v_add_f32_e32 v15, v113, v15                               // 0000000048C8: 021E1F71
	v_add_f32_e32 v15, v114, v15                               // 0000000048CC: 021E1F72
	v_add_f32_e32 v15, v115, v15                               // 0000000048D0: 021E1F73
	v_add_f32_e32 v15, v116, v15                               // 0000000048D4: 021E1F74
	v_add_f32_e32 v15, v117, v15                               // 0000000048D8: 021E1F75
	v_add_f32_e32 v15, v118, v15                               // 0000000048DC: 021E1F76
	v_add_f32_e32 v15, v119, v15                               // 0000000048E0: 021E1F77
	v_add_f32_e32 v15, v120, v15                               // 0000000048E4: 021E1F78
	v_add_f32_e32 v15, v121, v15                               // 0000000048E8: 021E1F79
	v_add_f32_e32 v15, v122, v15                               // 0000000048EC: 021E1F7A
	v_add_f32_e32 v15, v123, v15                               // 0000000048F0: 021E1F7B
	v_add_f32_e32 v15, v124, v15                               // 0000000048F4: 021E1F7C
	v_add_f32_e32 v15, v125, v15                               // 0000000048F8: 021E1F7D
	v_add_f32_e32 v15, v126, v15                               // 0000000048FC: 021E1F7E
	v_add_f32_e32 v15, v127, v15                               // 000000004900: 021E1F7F
	v_add_f32_e32 v38, v15, v38                                // 000000004904: 024C4D0F
	s_waitcnt lgkmcnt(0)                                       // 000000004908: BF8CC07F
	v_max3_f32 v48, |v64|, |v65|, v48                          // 00000000490C: D1D30330 04C28340
	v_max3_f32 v48, |v66|, |v67|, v48                          // 000000004914: D1D30330 04C28742
	v_max3_f32 v48, |v68|, |v69|, v48                          // 00000000491C: D1D30330 04C28B44
	v_max3_f32 v48, |v70|, |v71|, v48                          // 000000004924: D1D30330 04C28F46
	v_max3_f32 v48, |v72|, |v73|, v48                          // 00000000492C: D1D30330 04C29348
	v_max3_f32 v48, |v74|, |v75|, v48                          // 000000004934: D1D30330 04C2974A
	v_max3_f32 v48, |v76|, |v77|, v48                          // 00000000493C: D1D30330 04C29B4C
	v_max3_f32 v48, |v78|, |v79|, v48                          // 000000004944: D1D30330 04C29F4E
	s_nop 2                                                    // 00000000494C: BF800002
	v_rcp_f32_e32 v48, v48                                     // 000000004950: 7E604530
	s_nop 1                                                    // 000000004954: BF800001
	v_mul_f32_e32 v48, 0x43700000, v48                         // 000000004958: 0A6060FF 43700000
	v_mul_f32_e32 v112, v48, v240                              // 000000004960: 0AE1E130
	v_mul_f32_e32 v113, v48, v241                              // 000000004964: 0AE3E330
	v_mul_f32_e32 v114, v48, v242                              // 000000004968: 0AE5E530
	v_mul_f32_e32 v115, v48, v243                              // 00000000496C: 0AE7E730
	v_mul_f32_e32 v116, v48, v244                              // 000000004970: 0AE9E930
	v_mul_f32_e32 v117, v48, v245                              // 000000004974: 0AEBEB30
	v_mul_f32_e32 v118, v48, v246                              // 000000004978: 0AEDED30
	v_mul_f32_e32 v119, v48, v247                              // 00000000497C: 0AEFEF30
	v_mul_f32_e32 v120, v48, v248                              // 000000004980: 0AF1F130
	v_mul_f32_e32 v121, v48, v249                              // 000000004984: 0AF3F330
	v_mul_f32_e32 v122, v48, v250                              // 000000004988: 0AF5F530
	v_mul_f32_e32 v123, v48, v251                              // 00000000498C: 0AF7F730
	v_mul_f32_e32 v124, v48, v252                              // 000000004990: 0AF9F930
	v_mul_f32_e32 v125, v48, v253                              // 000000004994: 0AFBFB30
	v_mul_f32_e32 v126, v48, v254                              // 000000004998: 0AFDFD30
	v_mul_f32_e32 v127, v48, v255                              // 00000000499C: 0AFFFF30
	v_cvt_pk_fp8_f32 v112, v112, v113                          // 0000000049A0: D2A20070 0002E370
	v_cvt_pk_fp8_f32 v112, v114, v115 op_sel:[0,0,1]           // 0000000049A8: D2A24070 0002E772
	v_cvt_pk_fp8_f32 v113, v116, v117                          // 0000000049B0: D2A20071 0002EB74
	v_cvt_pk_fp8_f32 v113, v118, v119 op_sel:[0,0,1]           // 0000000049B8: D2A24071 0002EF76
	v_cvt_pk_fp8_f32 v114, v120, v121                          // 0000000049C0: D2A20072 0002F378
	v_cvt_pk_fp8_f32 v114, v122, v123 op_sel:[0,0,1]           // 0000000049C8: D2A24072 0002F77A
	v_cvt_pk_fp8_f32 v115, v124, v125                          // 0000000049D0: D2A20073 0002FB7C
	v_cvt_pk_fp8_f32 v115, v126, v127 op_sel:[0,0,1]           // 0000000049D8: D2A24073 0002FF7E
	ds_write_b32 v10, v112 offset:25088                        // 0000000049E0: D81A6200 0000700A
	ds_write_b32 v10, v113 offset:26112                        // 0000000049E8: D81A6600 0000710A
	ds_write_b32 v10, v114 offset:27136                        // 0000000049F0: D81A6A00 0000720A
	ds_write_b32 v10, v115 offset:28160                        // 0000000049F8: D81A6E00 0000730A
	v_add_f32_e32 v208, v208, v176                             // 000000004A00: 03A161D0
	v_add_f32_e32 v209, v209, v177                             // 000000004A04: 03A363D1
	v_add_f32_e32 v210, v210, v178                             // 000000004A08: 03A565D2
	v_add_f32_e32 v211, v211, v179                             // 000000004A0C: 03A767D3
	v_add_f32_e32 v212, v212, v180                             // 000000004A10: 03A969D4
	v_add_f32_e32 v213, v213, v181                             // 000000004A14: 03AB6BD5
	v_add_f32_e32 v214, v214, v182                             // 000000004A18: 03AD6DD6
	v_add_f32_e32 v215, v215, v183                             // 000000004A1C: 03AF6FD7
	v_rcp_f32_e32 v44, v48                                     // 000000004A20: 7E584530
	s_waitcnt lgkmcnt(0)                                       // 000000004A24: BF8CC07F
	s_barrier                                                  // 000000004A28: BF8A0000
	ds_read_b64 v[112:113], v9 offset:25088                    // 000000004A2C: D8EC6200 70000009
	ds_read_b64 v[114:115], v9 offset:25216                    // 000000004A34: D8EC6280 72000009
	ds_read_b64 v[116:117], v9 offset:26112                    // 000000004A3C: D8EC6600 74000009
	ds_read_b64 v[118:119], v9 offset:26240                    // 000000004A44: D8EC6680 76000009
	ds_read_b64 v[120:121], v9 offset:27136                    // 000000004A4C: D8EC6A00 78000009
	ds_read_b64 v[122:123], v9 offset:27264                    // 000000004A54: D8EC6A80 7A000009
	ds_read_b64 v[124:125], v9 offset:28160                    // 000000004A5C: D8EC6E00 7C000009
	ds_read_b64 v[126:127], v9 offset:28288                    // 000000004A64: D8EC6E80 7E000009
	s_waitcnt vmcnt(15)                                        // 000000004A6C: BF8C0F7F
	s_waitcnt lgkmcnt(7)                                       // 000000004A70: BF8CC77F
	v_mfma_f32_16x16x32_fp8_fp8 v[176:179], a[64:65], v[112:113], 0// 000000004A74: D3F300B0 0A02E140
	buffer_load_dwordx4 a[112:115], v34, s[20:23], 0 offen offset:1024// 000000004A7C: E05C1400 80857022
	s_waitcnt lgkmcnt(6)                                       // 000000004A84: BF8CC67F
	v_mfma_f32_16x16x32_fp8_fp8 v[176:179], a[66:67], v[114:115], v[176:179]// 000000004A88: D3F300B0 0EC2E542
	s_waitcnt lgkmcnt(5)                                       // 000000004A90: BF8CC57F
	v_mfma_f32_16x16x32_fp8_fp8 v[176:179], a[68:69], v[116:117], v[176:179]// 000000004A94: D3F300B0 0EC2E944
	s_waitcnt lgkmcnt(4)                                       // 000000004A9C: BF8CC47F
	v_mfma_f32_16x16x32_fp8_fp8 v[176:179], a[70:71], v[118:119], v[176:179]// 000000004AA0: D3F300B0 0EC2ED46
	s_waitcnt lgkmcnt(3)                                       // 000000004AA8: BF8CC37F
	v_mfma_f32_16x16x32_fp8_fp8 v[176:179], a[72:73], v[120:121], v[176:179]// 000000004AAC: D3F300B0 0EC2F148
	buffer_load_dwordx4 a[116:119], v35, s[20:23], 0 offen offset:1024// 000000004AB4: E05C1400 80857423
	s_waitcnt lgkmcnt(2)                                       // 000000004ABC: BF8CC27F
	v_mfma_f32_16x16x32_fp8_fp8 v[176:179], a[74:75], v[122:123], v[176:179]// 000000004AC0: D3F300B0 0EC2F54A
	s_waitcnt lgkmcnt(1)                                       // 000000004AC8: BF8CC17F
	v_mfma_f32_16x16x32_fp8_fp8 v[176:179], a[76:77], v[124:125], v[176:179]// 000000004ACC: D3F300B0 0EC2F94C
	s_waitcnt lgkmcnt(0)                                       // 000000004AD4: BF8CC07F
	v_mfma_f32_16x16x32_fp8_fp8 v[176:179], a[78:79], v[126:127], v[176:179]// 000000004AD8: D3F300B0 0EC2FD4E
	v_mfma_f32_16x16x32_fp8_fp8 v[180:183], a[80:81], v[112:113], 0// 000000004AE0: D3F300B4 0A02E150
	buffer_load_dwordx4 a[120:123], v36, s[20:23], 0 offen offset:1024// 000000004AE8: E05C1400 80857824
	v_mfma_f32_16x16x32_fp8_fp8 v[180:183], a[82:83], v[114:115], v[180:183]// 000000004AF0: D3F300B4 0ED2E552
	v_mfma_f32_16x16x32_fp8_fp8 v[180:183], a[84:85], v[116:117], v[180:183]// 000000004AF8: D3F300B4 0ED2E954
	v_mfma_f32_16x16x32_fp8_fp8 v[180:183], a[86:87], v[118:119], v[180:183]// 000000004B00: D3F300B4 0ED2ED56
	v_mfma_f32_16x16x32_fp8_fp8 v[180:183], a[88:89], v[120:121], v[180:183]// 000000004B08: D3F300B4 0ED2F158
	buffer_load_dwordx4 a[124:127], v37, s[20:23], 0 offen offset:1024// 000000004B10: E05C1400 80857C25
	v_mfma_f32_16x16x32_fp8_fp8 v[180:183], a[90:91], v[122:123], v[180:183]// 000000004B18: D3F300B4 0ED2F55A
	v_mfma_f32_16x16x32_fp8_fp8 v[180:183], a[92:93], v[124:125], v[180:183]// 000000004B20: D3F300B4 0ED2F95C
	s_lshr_b32 s57, s70, 4                                     // 000000004B28: 8F398446
	s_add_u32 s57, 48, s57                                     // 000000004B2C: 803939B0
	v_mfma_f32_16x16x32_fp8_fp8 v[180:183], a[94:95], v[126:127], v[180:183]// 000000004B30: D3F300B4 0ED2FD5E
	s_cmp_ge_u32 s57, s73                                      // 000000004B38: BF094939
	s_cselect_b32 s56, 0, s56                                  // 000000004B3C: 85383880
	v_add_u32_e32 v1, s56, v1                                  // 000000004B40: 68020238
	s_addk_i32 s70, 0x100                                      // 000000004B44: B7460100
	s_cmp_lt_i32 s70, s71                                      // 000000004B48: BF044746
	s_cbranch_scc0 label_078F                                  // 000000004B4C: BF84FD3B
	s_waitcnt vmcnt(8) lgkmcnt(0)                              // 000000004B50: BF8C0078
	v_mul_u32_u24_dpp v64, v16, v54 row_newbcast:0 row_mask:0xf bank_mask:0xf// 000000004B54: 10806CFA FF015010
	v_mul_u32_u24_dpp v65, v16, v54 row_newbcast:4 row_mask:0xf bank_mask:0xf// 000000004B5C: 10826CFA FF015410
	v_mul_u32_u24_dpp v66, v16, v54 row_newbcast:8 row_mask:0xf bank_mask:0xf// 000000004B64: 10846CFA FF015810
	v_mul_u32_u24_dpp v67, v16, v54 row_newbcast:12 row_mask:0xf bank_mask:0xf// 000000004B6C: 10866CFA FF015C10
	v_add_u32_e32 v22, v64, v5                                 // 000000004B74: 682C0B40
	v_add_u32_e32 v23, v65, v5                                 // 000000004B78: 682E0B41
	v_add_u32_e32 v24, v66, v5                                 // 000000004B7C: 68300B42
	v_add_u32_e32 v25, v67, v5                                 // 000000004B80: 68320B43
	v_mul_u32_u24_dpp v64, v16, v63 quad_perm:[0,0,0,0] row_mask:0xf bank_mask:0xf// 000000004B84: 10807EFA FF000010
	v_add_u32_e32 v2, v64, v59                                 // 000000004B8C: 68047740
	v_mul_u32_u24_dpp v64, v16, v63 quad_perm:[0,0,0,0] row_mask:0xf bank_mask:0xf// 000000004B90: 10807EFA FF000010
	v_add_u32_e32 v55, v64, v60                                // 000000004B98: 686E7940
	v_mfma_f32_16x16x32_fp8_fp8 v[112:115], a[32:33], v[80:81], 0// 000000004B9C: D3F30070 0A02A120
	buffer_load_dwordx4 a[0:3], v22, s[16:19], 0 offen         // 000000004BA4: E05C1000 80840016
	v_mfma_f32_16x16x32_fp8_fp8 v[112:115], a[34:35], v[82:83], v[112:115]// 000000004BAC: D3F30070 0DC2A522
	v_mfma_f32_16x16x32_fp8_fp8 v[112:115], a[36:37], v[84:85], v[112:115]// 000000004BB4: D3F30070 0DC2A924
	buffer_load_dword v17, v1, s[24:27], 0 offen               // 000000004BBC: E0501000 80061101
	v_mfma_f32_16x16x32_fp8_fp8 v[112:115], a[38:39], v[86:87], v[112:115]// 000000004BC4: D3F30070 0DC2AD26
	v_mfma_f32_16x16x32_fp8_fp8 v[116:119], a[40:41], v[80:81], 0// 000000004BCC: D3F30074 0A02A128
	buffer_load_dwordx4 a[4:7], v22, s[16:19], 0 offen offset:1024// 000000004BD4: E05C1400 80840416
	v_mfma_f32_16x16x32_fp8_fp8 v[116:119], a[42:43], v[82:83], v[116:119]// 000000004BDC: D3F30074 0DD2A52A
	v_mfma_f32_16x16x32_fp8_fp8 v[116:119], a[44:45], v[84:85], v[116:119]// 000000004BE4: D3F30074 0DD2A92C
	v_mfma_f32_16x16x32_fp8_fp8 v[116:119], a[46:47], v[86:87], v[116:119]// 000000004BEC: D3F30074 0DD2AD2E
	v_mfma_f32_16x16x32_fp8_fp8 v[120:123], a[48:49], v[80:81], 0// 000000004BF4: D3F30078 0A02A130
	buffer_load_dwordx4 a[8:11], v23, s[16:19], 0 offen        // 000000004BFC: E05C1000 80840817
	v_mfma_f32_16x16x32_fp8_fp8 v[120:123], a[50:51], v[82:83], v[120:123]// 000000004C04: D3F30078 0DE2A532
	v_mfma_f32_16x16x32_fp8_fp8 v[120:123], a[52:53], v[84:85], v[120:123]// 000000004C0C: D3F30078 0DE2A934
	v_mfma_f32_16x16x32_fp8_fp8 v[120:123], a[54:55], v[86:87], v[120:123]// 000000004C14: D3F30078 0DE2AD36
	v_mfma_f32_16x16x32_fp8_fp8 v[124:127], a[56:57], v[80:81], 0// 000000004C1C: D3F3007C 0A02A138
	buffer_load_dwordx4 a[12:15], v23, s[16:19], 0 offen offset:1024// 000000004C24: E05C1400 80840C17
	v_mfma_f32_16x16x32_fp8_fp8 v[124:127], a[58:59], v[82:83], v[124:127]// 000000004C2C: D3F3007C 0DF2A53A
	v_mfma_f32_16x16x32_fp8_fp8 v[124:127], a[60:61], v[84:85], v[124:127]// 000000004C34: D3F3007C 0DF2A93C
	v_mfma_f32_16x16x32_fp8_fp8 v[124:127], a[62:63], v[86:87], v[124:127]// 000000004C3C: D3F3007C 0DF2AD3E
	buffer_load_dword v42, v2, s[32:35], 0 offen               // 000000004C44: E0501000 80082A02
	v_mov_b32_dpp v64, v43 row_shr:4 row_mask:0xf bank_mask:0xf// 000000004C4C: 7E8002FA FF01142B
	v_mov_b32_dpp v65, v43 row_shl:4 row_mask:0xf bank_mask:0xf// 000000004C54: 7E8202FA FF01042B
	v_cndmask_b32_e64 v248, v43, v64, s[44:45]                 // 000000004C5C: D10000F8 00B2812B
	v_cndmask_b32_e64 v249, v65, v43, s[44:45]                 // 000000004C64: D10000F9 00B25741
	v_mov_b32_dpp v64, v248 row_shr:8 row_mask:0xf bank_mask:0xf// 000000004C6C: 7E8002FA FF0118F8
	v_mov_b32_dpp v65, v248 row_shl:8 row_mask:0xf bank_mask:0xf// 000000004C74: 7E8202FA FF0108F8
	v_mov_b32_dpp v66, v249 row_shr:8 row_mask:0xf bank_mask:0xf// 000000004C7C: 7E8402FA FF0118F9
	v_mov_b32_dpp v67, v249 row_shl:8 row_mask:0xf bank_mask:0xf// 000000004C84: 7E8602FA FF0108F9
	v_mov_b32_e32 v68, v248                                    // 000000004C8C: 7E8803F8
	v_mov_b32_e32 v69, v249                                    // 000000004C90: 7E8A03F9
	v_cndmask_b32_e64 v248, v68, v64, s[42:43]                 // 000000004C94: D10000F8 00AA8144
	v_cndmask_b32_e64 v250, v68, v65, s[78:79]                 // 000000004C9C: D10000FA 013A8344
	v_cndmask_b32_e64 v249, v69, v66, s[42:43]                 // 000000004CA4: D10000F9 00AA8545
	v_cndmask_b32_e64 v251, v69, v67, s[78:79]                 // 000000004CAC: D10000FB 013A8745
	v_mov_b32_dpp v64, v58 row_shr:4 row_mask:0xf bank_mask:0xf// 000000004CB4: 7E8002FA FF01143A
	v_mov_b32_dpp v65, v58 row_shl:4 row_mask:0xf bank_mask:0xf// 000000004CBC: 7E8202FA FF01043A
	v_cndmask_b32_e64 v252, v58, v64, s[44:45]                 // 000000004CC4: D10000FC 00B2813A
	v_cndmask_b32_e64 v253, v65, v58, s[44:45]                 // 000000004CCC: D10000FD 00B27541
	v_mov_b32_dpp v64, v252 row_shr:8 row_mask:0xf bank_mask:0xf// 000000004CD4: 7E8002FA FF0118FC
	v_mov_b32_dpp v65, v252 row_shl:8 row_mask:0xf bank_mask:0xf// 000000004CDC: 7E8202FA FF0108FC
	v_mov_b32_dpp v66, v253 row_shr:8 row_mask:0xf bank_mask:0xf// 000000004CE4: 7E8402FA FF0118FD
	v_mov_b32_dpp v67, v253 row_shl:8 row_mask:0xf bank_mask:0xf// 000000004CEC: 7E8602FA FF0108FD
	v_mov_b32_e32 v68, v252                                    // 000000004CF4: 7E8803FC
	v_mov_b32_e32 v69, v253                                    // 000000004CF8: 7E8A03FD
	v_cndmask_b32_e64 v252, v68, v64, s[42:43]                 // 000000004CFC: D10000FC 00AA8144
	v_cndmask_b32_e64 v254, v68, v65, s[78:79]                 // 000000004D04: D10000FE 013A8344
	v_cndmask_b32_e64 v253, v69, v66, s[42:43]                 // 000000004D0C: D10000FD 00AA8545
	v_cndmask_b32_e64 v255, v69, v67, s[78:79]                 // 000000004D14: D10000FF 013A8745
	buffer_load_dword v57, v55, s[36:39], 0 offen              // 000000004D1C: E0501000 80093937
	v_mul_f32_e32 v112, v18, v112                              // 000000004D24: 0AE0E112
	v_mul_f32_e32 v113, v18, v113                              // 000000004D28: 0AE2E312
	v_mul_f32_e32 v114, v18, v114                              // 000000004D2C: 0AE4E512
	v_mul_f32_e32 v115, v18, v115                              // 000000004D30: 0AE6E712
	v_mul_f32_e32 v116, v18, v116                              // 000000004D34: 0AE8E912
	v_mul_f32_e32 v117, v18, v117                              // 000000004D38: 0AEAEB12
	v_mul_f32_e32 v118, v18, v118                              // 000000004D3C: 0AECED12
	v_mul_f32_e32 v119, v18, v119                              // 000000004D40: 0AEEEF12
	v_mul_f32_e32 v120, v18, v120                              // 000000004D44: 0AF0F112
	v_mul_f32_e32 v121, v18, v121                              // 000000004D48: 0AF2F312
	v_mul_f32_e32 v122, v18, v122                              // 000000004D4C: 0AF4F512
	v_mul_f32_e32 v123, v18, v123                              // 000000004D50: 0AF6F712
	v_mul_f32_e32 v124, v18, v124                              // 000000004D54: 0AF8F912
	v_mul_f32_e32 v125, v18, v125                              // 000000004D58: 0AFAFB12
	v_mul_f32_e32 v126, v18, v126                              // 000000004D5C: 0AFCFD12
	v_mul_f32_e32 v127, v18, v127                              // 000000004D60: 0AFEFF12
	buffer_load_dwordx4 a[16:19], v24, s[16:19], 0 offen       // 000000004D64: E05C1000 80841018
	v_mul_f32_dpp v112, v248, v112 quad_perm:[0,0,0,0] row_mask:0xf bank_mask:0xf// 000000004D6C: 0AE0E0FA FF0000F8
	v_mul_f32_dpp v113, v248, v113 quad_perm:[1,1,1,1] row_mask:0xf bank_mask:0xf// 000000004D74: 0AE2E2FA FF0055F8
	v_mul_f32_dpp v114, v248, v114 quad_perm:[2,2,2,2] row_mask:0xf bank_mask:0xf// 000000004D7C: 0AE4E4FA FF00AAF8
	v_mul_f32_dpp v115, v248, v115 quad_perm:[3,3,3,3] row_mask:0xf bank_mask:0xf// 000000004D84: 0AE6E6FA FF00FFF8
	v_mul_f32_dpp v116, v249, v116 quad_perm:[0,0,0,0] row_mask:0xf bank_mask:0xf// 000000004D8C: 0AE8E8FA FF0000F9
	v_mul_f32_dpp v117, v249, v117 quad_perm:[1,1,1,1] row_mask:0xf bank_mask:0xf// 000000004D94: 0AEAEAFA FF0055F9
	v_mul_f32_dpp v118, v249, v118 quad_perm:[2,2,2,2] row_mask:0xf bank_mask:0xf// 000000004D9C: 0AECECFA FF00AAF9
	v_mul_f32_dpp v119, v249, v119 quad_perm:[3,3,3,3] row_mask:0xf bank_mask:0xf// 000000004DA4: 0AEEEEFA FF00FFF9
	v_mul_f32_dpp v120, v250, v120 quad_perm:[0,0,0,0] row_mask:0xf bank_mask:0xf// 000000004DAC: 0AF0F0FA FF0000FA
	v_mul_f32_dpp v121, v250, v121 quad_perm:[1,1,1,1] row_mask:0xf bank_mask:0xf// 000000004DB4: 0AF2F2FA FF0055FA
	v_mul_f32_dpp v122, v250, v122 quad_perm:[2,2,2,2] row_mask:0xf bank_mask:0xf// 000000004DBC: 0AF4F4FA FF00AAFA
	v_mul_f32_dpp v123, v250, v123 quad_perm:[3,3,3,3] row_mask:0xf bank_mask:0xf// 000000004DC4: 0AF6F6FA FF00FFFA
	v_mul_f32_dpp v124, v251, v124 quad_perm:[0,0,0,0] row_mask:0xf bank_mask:0xf// 000000004DCC: 0AF8F8FA FF0000FB
	v_mul_f32_dpp v125, v251, v125 quad_perm:[1,1,1,1] row_mask:0xf bank_mask:0xf// 000000004DD4: 0AFAFAFA FF0055FB
	v_mul_f32_dpp v126, v251, v126 quad_perm:[2,2,2,2] row_mask:0xf bank_mask:0xf// 000000004DDC: 0AFCFCFA FF00AAFB
	v_mul_f32_dpp v127, v251, v127 quad_perm:[3,3,3,3] row_mask:0xf bank_mask:0xf// 000000004DE4: 0AFEFEFA FF00FFFB
	buffer_load_dwordx4 a[20:23], v24, s[16:19], 0 offen offset:1024// 000000004DEC: E05C1400 80841418
	s_cmp_le_i32 s90, s89                                      // 000000004DF4: BF05595A
	s_cbranch_scc1 label_0B70                                  // 000000004DF8: BF850071
	v_mov_b32_e32 v66, 0xff800000                              // 000000004DFC: 7E8402FF FF800000
	s_mov_b32 s60, s90                                         // 000000004E04: BEBC005A
	s_add_u32 s61, s89, 0xff                                   // 000000004E08: 803DFF59 000000FF
	v_mov_b32_e32 v64, s61                                     // 000000004E10: 7E80023D
	v_lshrrev_b32_e32 v240, 4, v0                              // 000000004E14: 21E00084
	v_mul_i32_i24_e32 v240, 4, v240                            // 000000004E18: 0DE1E084
	v_add_u32_e32 v240, s60, v240                              // 000000004E1C: 69E1E03C
	s_mov_b32 s61, 0                                           // 000000004E20: BEBD0080
	s_mul_i32 s60, 16, s7                                      // 000000004E24: 923C0790
	v_sub_u32_e64 v240, v240, s61                              // 000000004E28: D13500F0 00007BF0
	v_add_u32_e32 v240, s60, v240                              // 000000004E30: 69E1E03C
	v_add_u32_e32 v241, 1, v240                                // 000000004E34: 69E3E081
	v_add_u32_e32 v242, 2, v240                                // 000000004E38: 69E5E082
	v_add_u32_e32 v243, 3, v240                                // 000000004E3C: 69E7E083
	v_cmp_le_u32_e64 s[40:41], v240, v64                       // 000000004E40: D0CB0028 000281F0
	v_add_u32_e32 v240, 64, v240                               // 000000004E48: 69E1E0C0
	s_nop 0                                                    // 000000004E4C: BF800000
	v_cndmask_b32_e64 v112, v66, v112, s[40:41]                // 000000004E50: D1000070 00A2E142
	v_cmp_le_u32_e64 s[40:41], v241, v64                       // 000000004E58: D0CB0028 000281F1
	v_add_u32_e32 v241, 64, v241                               // 000000004E60: 69E3E2C0
	s_nop 0                                                    // 000000004E64: BF800000
	v_cndmask_b32_e64 v113, v66, v113, s[40:41]                // 000000004E68: D1000071 00A2E342
	v_cmp_le_u32_e64 s[40:41], v242, v64                       // 000000004E70: D0CB0028 000281F2
	v_add_u32_e32 v242, 64, v242                               // 000000004E78: 69E5E4C0
	s_nop 0                                                    // 000000004E7C: BF800000
	v_cndmask_b32_e64 v114, v66, v114, s[40:41]                // 000000004E80: D1000072 00A2E542
	v_cmp_le_u32_e64 s[40:41], v243, v64                       // 000000004E88: D0CB0028 000281F3
	v_add_u32_e32 v243, 64, v243                               // 000000004E90: 69E7E6C0
	s_nop 0                                                    // 000000004E94: BF800000
	v_cndmask_b32_e64 v115, v66, v115, s[40:41]                // 000000004E98: D1000073 00A2E742
	v_cmp_le_u32_e64 s[40:41], v240, v64                       // 000000004EA0: D0CB0028 000281F0
	v_add_u32_e32 v240, 64, v240                               // 000000004EA8: 69E1E0C0
	s_nop 0                                                    // 000000004EAC: BF800000
	v_cndmask_b32_e64 v116, v66, v116, s[40:41]                // 000000004EB0: D1000074 00A2E942
	v_cmp_le_u32_e64 s[40:41], v241, v64                       // 000000004EB8: D0CB0028 000281F1
	v_add_u32_e32 v241, 64, v241                               // 000000004EC0: 69E3E2C0
	s_nop 0                                                    // 000000004EC4: BF800000
	v_cndmask_b32_e64 v117, v66, v117, s[40:41]                // 000000004EC8: D1000075 00A2EB42
	v_cmp_le_u32_e64 s[40:41], v242, v64                       // 000000004ED0: D0CB0028 000281F2
	v_add_u32_e32 v242, 64, v242                               // 000000004ED8: 69E5E4C0
	s_nop 0                                                    // 000000004EDC: BF800000
	v_cndmask_b32_e64 v118, v66, v118, s[40:41]                // 000000004EE0: D1000076 00A2ED42
	v_cmp_le_u32_e64 s[40:41], v243, v64                       // 000000004EE8: D0CB0028 000281F3
	v_add_u32_e32 v243, 64, v243                               // 000000004EF0: 69E7E6C0
	s_nop 0                                                    // 000000004EF4: BF800000
	v_cndmask_b32_e64 v119, v66, v119, s[40:41]                // 000000004EF8: D1000077 00A2EF42
	v_cmp_le_u32_e64 s[40:41], v240, v64                       // 000000004F00: D0CB0028 000281F0
	v_add_u32_e32 v240, 64, v240                               // 000000004F08: 69E1E0C0
	s_nop 0                                                    // 000000004F0C: BF800000
	v_cndmask_b32_e64 v120, v66, v120, s[40:41]                // 000000004F10: D1000078 00A2F142
	v_cmp_le_u32_e64 s[40:41], v241, v64                       // 000000004F18: D0CB0028 000281F1
	v_add_u32_e32 v241, 64, v241                               // 000000004F20: 69E3E2C0
	s_nop 0                                                    // 000000004F24: BF800000
	v_cndmask_b32_e64 v121, v66, v121, s[40:41]                // 000000004F28: D1000079 00A2F342
	v_cmp_le_u32_e64 s[40:41], v242, v64                       // 000000004F30: D0CB0028 000281F2
	v_add_u32_e32 v242, 64, v242                               // 000000004F38: 69E5E4C0
	s_nop 0                                                    // 000000004F3C: BF800000
	v_cndmask_b32_e64 v122, v66, v122, s[40:41]                // 000000004F40: D100007A 00A2F542
	v_cmp_le_u32_e64 s[40:41], v243, v64                       // 000000004F48: D0CB0028 000281F3
	v_add_u32_e32 v243, 64, v243                               // 000000004F50: 69E7E6C0
	s_nop 0                                                    // 000000004F54: BF800000
	v_cndmask_b32_e64 v123, v66, v123, s[40:41]                // 000000004F58: D100007B 00A2F742
	v_cmp_le_u32_e64 s[40:41], v240, v64                       // 000000004F60: D0CB0028 000281F0
	v_add_u32_e32 v240, 64, v240                               // 000000004F68: 69E1E0C0
	s_nop 0                                                    // 000000004F6C: BF800000
	v_cndmask_b32_e64 v124, v66, v124, s[40:41]                // 000000004F70: D100007C 00A2F942
	v_cmp_le_u32_e64 s[40:41], v241, v64                       // 000000004F78: D0CB0028 000281F1
	v_add_u32_e32 v241, 64, v241                               // 000000004F80: 69E3E2C0
	s_nop 0                                                    // 000000004F84: BF800000
	v_cndmask_b32_e64 v125, v66, v125, s[40:41]                // 000000004F88: D100007D 00A2FB42
	v_cmp_le_u32_e64 s[40:41], v242, v64                       // 000000004F90: D0CB0028 000281F2
	v_add_u32_e32 v242, 64, v242                               // 000000004F98: 69E5E4C0
	s_nop 0                                                    // 000000004F9C: BF800000
	v_cndmask_b32_e64 v126, v66, v126, s[40:41]                // 000000004FA0: D100007E 00A2FD42
	v_cmp_le_u32_e64 s[40:41], v243, v64                       // 000000004FA8: D0CB0028 000281F3
	v_add_u32_e32 v243, 64, v243                               // 000000004FB0: 69E7E6C0
	s_nop 0                                                    // 000000004FB4: BF800000
	v_cndmask_b32_e64 v127, v66, v127, s[40:41]                // 000000004FB8: D100007F 00A2FF42

0000000000004fc0 <label_0B70>:
	s_add_u32 s90, s91, s90                                    // 000000004FC0: 805A5A5B
	v_mov_b32_e32 v48, v112                                    // 000000004FC4: 7E600370
	v_max3_f32 v48, v112, v113, v48                            // 000000004FC8: D1D30030 04C2E370
	v_max3_f32 v48, v114, v115, v48                            // 000000004FD0: D1D30030 04C2E772
	v_max3_f32 v48, v116, v117, v48                            // 000000004FD8: D1D30030 04C2EB74
	v_max3_f32 v48, v118, v119, v48                            // 000000004FE0: D1D30030 04C2EF76
	v_max3_f32 v48, v120, v121, v48                            // 000000004FE8: D1D30030 04C2F378
	v_max3_f32 v48, v122, v123, v48                            // 000000004FF0: D1D30030 04C2F77A
	v_max3_f32 v48, v124, v125, v48                            // 000000004FF8: D1D30030 04C2FB7C
	v_max3_f32 v48, v126, v127, v48                            // 000000005000: D1D30030 04C2FF7E
	ds_write_b32 v8, v48 offset:16896                          // 000000005008: D81A4200 00003008
	buffer_load_dwordx4 a[24:27], v25, s[16:19], 0 offen       // 000000005010: E05C1000 80841819
	v_mul_u32_u24_dpp v64, v16, v54 row_newbcast:1 row_mask:0xf bank_mask:0xf// 000000005018: 10806CFA FF015110
	v_mul_u32_u24_dpp v65, v16, v54 row_newbcast:5 row_mask:0xf bank_mask:0xf// 000000005020: 10826CFA FF015510
	v_mul_u32_u24_dpp v66, v16, v54 row_newbcast:9 row_mask:0xf bank_mask:0xf// 000000005028: 10846CFA FF015910
	v_mul_u32_u24_dpp v67, v16, v54 row_newbcast:13 row_mask:0xf bank_mask:0xf// 000000005030: 10866CFA FF015D10
	v_add_u32_e32 v30, v64, v6                                 // 000000005038: 683C0D40
	v_add_u32_e32 v31, v65, v6                                 // 00000000503C: 683E0D41
	v_add_u32_e32 v32, v66, v6                                 // 000000005040: 68400D42
	v_add_u32_e32 v33, v67, v6                                 // 000000005044: 68420D43
	v_mul_f32_e32 v208, v49, v208                              // 000000005048: 0BA1A131
	v_mul_f32_e32 v209, v49, v209                              // 00000000504C: 0BA3A331
	v_mul_f32_e32 v210, v49, v210                              // 000000005050: 0BA5A531
	v_mul_f32_e32 v211, v49, v211                              // 000000005054: 0BA7A731
	v_mul_f32_e32 v212, v49, v212                              // 000000005058: 0BA9A931
	v_mul_f32_e32 v213, v49, v213                              // 00000000505C: 0BABAB31
	v_mul_f32_e32 v214, v49, v214                              // 000000005060: 0BADAD31
	v_mul_f32_e32 v215, v49, v215                              // 000000005064: 0BAFAF31
	s_waitcnt lgkmcnt(0)                                       // 000000005068: BF8CC07F
	s_barrier                                                  // 00000000506C: BF8A0000
	ds_read_b32 v64, v7 offset:16896                           // 000000005070: D86C4200 40000007
	ds_read_b32 v65, v7 offset:16960                           // 000000005078: D86C4240 41000007
	ds_read_b32 v66, v7 offset:17024                           // 000000005080: D86C4280 42000007
	ds_read_b32 v67, v7 offset:17088                           // 000000005088: D86C42C0 43000007
	ds_read_b32 v68, v7 offset:17152                           // 000000005090: D86C4300 44000007
	ds_read_b32 v69, v7 offset:17216                           // 000000005098: D86C4340 45000007
	ds_read_b32 v70, v7 offset:17280                           // 0000000050A0: D86C4380 46000007
	ds_read_b32 v71, v7 offset:17344                           // 0000000050A8: D86C43C0 47000007
	ds_read_b32 v72, v7 offset:17408                           // 0000000050B0: D86C4400 48000007
	ds_read_b32 v73, v7 offset:17472                           // 0000000050B8: D86C4440 49000007
	ds_read_b32 v74, v7 offset:17536                           // 0000000050C0: D86C4480 4A000007
	ds_read_b32 v75, v7 offset:17600                           // 0000000050C8: D86C44C0 4B000007
	ds_read_b32 v76, v7 offset:17664                           // 0000000050D0: D86C4500 4C000007
	ds_read_b32 v77, v7 offset:17728                           // 0000000050D8: D86C4540 4D000007
	ds_read_b32 v78, v7 offset:17792                           // 0000000050E0: D86C4580 4E000007
	ds_read_b32 v79, v7 offset:17856                           // 0000000050E8: D86C45C0 4F000007
	buffer_load_dwordx4 a[28:31], v25, s[16:19], 0 offen offset:1024// 0000000050F0: E05C1400 80841C19
	v_mul_f32_e32 v176, v44, v176                              // 0000000050F8: 0B61612C
	v_mul_f32_e32 v177, v44, v177                              // 0000000050FC: 0B63632C
	v_mul_f32_e32 v178, v44, v178                              // 000000005100: 0B65652C
	v_mul_f32_e32 v179, v44, v179                              // 000000005104: 0B67672C
	v_mul_f32_e32 v180, v44, v180                              // 000000005108: 0B69692C
	v_mul_f32_e32 v181, v44, v181                              // 00000000510C: 0B6B6B2C
	v_mul_f32_e32 v182, v44, v182                              // 000000005110: 0B6D6D2C
	v_mul_f32_e32 v183, v44, v183                              // 000000005114: 0B6F6F2C
	s_waitcnt lgkmcnt(0)                                       // 000000005118: BF8CC07F
	v_max3_f32 v48, v64, v65, v48                              // 00000000511C: D1D30030 04C28340
	v_max3_f32 v48, v66, v67, v48                              // 000000005124: D1D30030 04C28742
	v_max3_f32 v48, v68, v69, v48                              // 00000000512C: D1D30030 04C28B44
	v_max3_f32 v48, v70, v71, v48                              // 000000005134: D1D30030 04C28F46
	v_max3_f32 v48, v72, v73, v48                              // 00000000513C: D1D30030 04C29348
	v_max3_f32 v48, v74, v75, v48                              // 000000005144: D1D30030 04C2974A
	v_max3_f32 v48, v76, v77, v48                              // 00000000514C: D1D30030 04C29B4C
	v_max3_f32 v48, v78, v79, v48                              // 000000005154: D1D30030 04C29F4E
	buffer_load_dwordx4 a[64:67], v30, s[20:23], 0 offen       // 00000000515C: E05C1000 8085401E
	v_mov_b32_e32 v64, 0xff800000                              // 000000005164: 7E8002FF FF800000
	v_cmp_eq_u32_e64 s[40:41], v64, v11                        // 00000000516C: D0CA0028 00021740
	s_nop 1                                                    // 000000005174: BF800001
	v_max_f32_e32 v15, v48, v11                                // 000000005178: 161E1730
	v_mul_f32_e32 v53, s64, v15                                // 00000000517C: 0A6A1E40
	v_fma_f32 v112, v112, s64, -v53                            // 000000005180: D1CB0070 84D48170
	v_fma_f32 v113, v113, s64, -v53                            // 000000005188: D1CB0071 84D48171
	v_fma_f32 v114, v114, s64, -v53                            // 000000005190: D1CB0072 84D48172
	v_fma_f32 v115, v115, s64, -v53                            // 000000005198: D1CB0073 84D48173
	v_fma_f32 v116, v116, s64, -v53                            // 0000000051A0: D1CB0074 84D48174
	v_fma_f32 v117, v117, s64, -v53                            // 0000000051A8: D1CB0075 84D48175
	v_fma_f32 v118, v118, s64, -v53                            // 0000000051B0: D1CB0076 84D48176
	v_fma_f32 v119, v119, s64, -v53                            // 0000000051B8: D1CB0077 84D48177
	v_fma_f32 v120, v120, s64, -v53                            // 0000000051C0: D1CB0078 84D48178
	v_fma_f32 v121, v121, s64, -v53                            // 0000000051C8: D1CB0079 84D48179
	v_fma_f32 v122, v122, s64, -v53                            // 0000000051D0: D1CB007A 84D4817A
	v_fma_f32 v123, v123, s64, -v53                            // 0000000051D8: D1CB007B 84D4817B
	v_fma_f32 v124, v124, s64, -v53                            // 0000000051E0: D1CB007C 84D4817C
	v_fma_f32 v125, v125, s64, -v53                            // 0000000051E8: D1CB007D 84D4817D
	v_fma_f32 v126, v126, s64, -v53                            // 0000000051F0: D1CB007E 84D4817E
	v_fma_f32 v127, v127, s64, -v53                            // 0000000051F8: D1CB007F 84D4817F
	buffer_load_dwordx4 a[68:71], v31, s[20:23], 0 offen       // 000000005200: E05C1000 8085441F
	v_exp_f32_e32 v112, v112                                   // 000000005208: 7EE04170
	v_exp_f32_e32 v113, v113                                   // 00000000520C: 7EE24171
	v_exp_f32_e32 v114, v114                                   // 000000005210: 7EE44172
	v_exp_f32_e32 v115, v115                                   // 000000005214: 7EE64173
	v_exp_f32_e32 v116, v116                                   // 000000005218: 7EE84174
	v_exp_f32_e32 v117, v117                                   // 00000000521C: 7EEA4175
	v_exp_f32_e32 v118, v118                                   // 000000005220: 7EEC4176
	v_exp_f32_e32 v119, v119                                   // 000000005224: 7EEE4177
	v_exp_f32_e32 v120, v120                                   // 000000005228: 7EF04178
	v_exp_f32_e32 v121, v121                                   // 00000000522C: 7EF24179
	v_exp_f32_e32 v122, v122                                   // 000000005230: 7EF4417A
	v_exp_f32_e32 v123, v123                                   // 000000005234: 7EF6417B
	v_exp_f32_e32 v124, v124                                   // 000000005238: 7EF8417C
	v_exp_f32_e32 v125, v125                                   // 00000000523C: 7EFA417D
	v_exp_f32_e32 v126, v126                                   // 000000005240: 7EFC417E
	v_exp_f32_e32 v127, v127                                   // 000000005244: 7EFE417F
	buffer_load_dwordx4 a[72:75], v32, s[20:23], 0 offen       // 000000005248: E05C1000 80854820
	v_mul_f32_dpp v240, v252, v112 quad_perm:[0,0,0,0] row_mask:0xf bank_mask:0xf// 000000005250: 0BE0E0FA FF0000FC
	v_mul_f32_dpp v241, v252, v113 quad_perm:[1,1,1,1] row_mask:0xf bank_mask:0xf// 000000005258: 0BE2E2FA FF0055FC
	v_mul_f32_dpp v242, v252, v114 quad_perm:[2,2,2,2] row_mask:0xf bank_mask:0xf// 000000005260: 0BE4E4FA FF00AAFC
	v_mul_f32_dpp v243, v252, v115 quad_perm:[3,3,3,3] row_mask:0xf bank_mask:0xf// 000000005268: 0BE6E6FA FF00FFFC
	v_mul_f32_dpp v244, v253, v116 quad_perm:[0,0,0,0] row_mask:0xf bank_mask:0xf// 000000005270: 0BE8E8FA FF0000FD
	v_mul_f32_dpp v245, v253, v117 quad_perm:[1,1,1,1] row_mask:0xf bank_mask:0xf// 000000005278: 0BEAEAFA FF0055FD
	v_mul_f32_dpp v246, v253, v118 quad_perm:[2,2,2,2] row_mask:0xf bank_mask:0xf// 000000005280: 0BECECFA FF00AAFD
	v_mul_f32_dpp v247, v253, v119 quad_perm:[3,3,3,3] row_mask:0xf bank_mask:0xf// 000000005288: 0BEEEEFA FF00FFFD
	v_mul_f32_dpp v248, v254, v120 quad_perm:[0,0,0,0] row_mask:0xf bank_mask:0xf// 000000005290: 0BF0F0FA FF0000FE
	v_mul_f32_dpp v249, v254, v121 quad_perm:[1,1,1,1] row_mask:0xf bank_mask:0xf// 000000005298: 0BF2F2FA FF0055FE
	v_mul_f32_dpp v250, v254, v122 quad_perm:[2,2,2,2] row_mask:0xf bank_mask:0xf// 0000000052A0: 0BF4F4FA FF00AAFE
	v_mul_f32_dpp v251, v254, v123 quad_perm:[3,3,3,3] row_mask:0xf bank_mask:0xf// 0000000052A8: 0BF6F6FA FF00FFFE
	v_mul_f32_dpp v252, v255, v124 quad_perm:[0,0,0,0] row_mask:0xf bank_mask:0xf// 0000000052B0: 0BF8F8FA FF0000FF
	v_mul_f32_dpp v253, v255, v125 quad_perm:[1,1,1,1] row_mask:0xf bank_mask:0xf// 0000000052B8: 0BFAFAFA FF0055FF
	v_mul_f32_dpp v254, v255, v126 quad_perm:[2,2,2,2] row_mask:0xf bank_mask:0xf// 0000000052C0: 0BFCFCFA FF00AAFF
	v_mul_f32_dpp v255, v255, v127 quad_perm:[3,3,3,3] row_mask:0xf bank_mask:0xf// 0000000052C8: 0BFEFEFA FF00FFFF
	v_mov_b32_e32 v48, 0x358637bd                              // 0000000052D0: 7E6002FF 358637BD
	v_max3_f32 v48, |v240|, |v241|, v48                        // 0000000052D8: D1D30330 04C3E3F0
	v_max3_f32 v48, |v242|, |v243|, v48                        // 0000000052E0: D1D30330 04C3E7F2
	v_max3_f32 v48, |v244|, |v245|, v48                        // 0000000052E8: D1D30330 04C3EBF4
	v_max3_f32 v48, |v246|, |v247|, v48                        // 0000000052F0: D1D30330 04C3EFF6
	v_max3_f32 v48, |v248|, |v249|, v48                        // 0000000052F8: D1D30330 04C3F3F8
	v_max3_f32 v48, |v250|, |v251|, v48                        // 000000005300: D1D30330 04C3F7FA
	v_max3_f32 v48, |v252|, |v253|, v48                        // 000000005308: D1D30330 04C3FBFC
	v_max3_f32 v48, |v254|, |v255|, v48                        // 000000005310: D1D30330 04C3FFFE
	buffer_load_dwordx4 a[76:79], v33, s[20:23], 0 offen       // 000000005318: E05C1000 80854C21
	ds_write_b32 v8, v48 offset:20992                          // 000000005320: D81A5200 00003008
	v_sub_f32_e32 v49, v11, v15                                // 000000005328: 04621F0B
	v_cndmask_b32_e64 v49, v49, 0, s[40:41]                    // 00000000532C: D1000031 00A10131
	v_mov_b32_e32 v11, v15                                     // 000000005334: 7E16030F
	v_mul_f32_e32 v49, s64, v49                                // 000000005338: 0A626240
	v_exp_f32_e32 v49, v49                                     // 00000000533C: 7E624131
	s_waitcnt lgkmcnt(0)                                       // 000000005340: BF8CC07F
	s_barrier                                                  // 000000005344: BF8A0000
	ds_read_b32 v64, v7 offset:20992                           // 000000005348: D86C5200 40000007
	ds_read_b32 v65, v7 offset:21056                           // 000000005350: D86C5240 41000007
	ds_read_b32 v66, v7 offset:21120                           // 000000005358: D86C5280 42000007
	ds_read_b32 v67, v7 offset:21184                           // 000000005360: D86C52C0 43000007
	ds_read_b32 v68, v7 offset:21248                           // 000000005368: D86C5300 44000007
	ds_read_b32 v69, v7 offset:21312                           // 000000005370: D86C5340 45000007
	ds_read_b32 v70, v7 offset:21376                           // 000000005378: D86C5380 46000007
	ds_read_b32 v71, v7 offset:21440                           // 000000005380: D86C53C0 47000007
	ds_read_b32 v72, v7 offset:21504                           // 000000005388: D86C5400 48000007
	ds_read_b32 v73, v7 offset:21568                           // 000000005390: D86C5440 49000007
	ds_read_b32 v74, v7 offset:21632                           // 000000005398: D86C5480 4A000007
	ds_read_b32 v75, v7 offset:21696                           // 0000000053A0: D86C54C0 4B000007
	ds_read_b32 v76, v7 offset:21760                           // 0000000053A8: D86C5500 4C000007
	ds_read_b32 v77, v7 offset:21824                           // 0000000053B0: D86C5540 4D000007
	ds_read_b32 v78, v7 offset:21888                           // 0000000053B8: D86C5580 4E000007
	ds_read_b32 v79, v7 offset:21952                           // 0000000053C0: D86C55C0 4F000007
	v_mul_f32_e32 v38, v49, v38                                // 0000000053C8: 0A4C4D31
	v_mov_b32_e32 v15, v112                                    // 0000000053CC: 7E1E0370
	v_add_f32_e32 v15, v113, v15                               // 0000000053D0: 021E1F71
	v_add_f32_e32 v15, v114, v15                               // 0000000053D4: 021E1F72
	v_add_f32_e32 v15, v115, v15                               // 0000000053D8: 021E1F73
	v_add_f32_e32 v15, v116, v15                               // 0000000053DC: 021E1F74
	v_add_f32_e32 v15, v117, v15                               // 0000000053E0: 021E1F75
	v_add_f32_e32 v15, v118, v15                               // 0000000053E4: 021E1F76
	v_add_f32_e32 v15, v119, v15                               // 0000000053E8: 021E1F77
	v_add_f32_e32 v15, v120, v15                               // 0000000053EC: 021E1F78
	v_add_f32_e32 v15, v121, v15                               // 0000000053F0: 021E1F79
	v_add_f32_e32 v15, v122, v15                               // 0000000053F4: 021E1F7A
	v_add_f32_e32 v15, v123, v15                               // 0000000053F8: 021E1F7B
	v_add_f32_e32 v15, v124, v15                               // 0000000053FC: 021E1F7C
	v_add_f32_e32 v15, v125, v15                               // 000000005400: 021E1F7D
	v_add_f32_e32 v15, v126, v15                               // 000000005404: 021E1F7E
	v_add_f32_e32 v15, v127, v15                               // 000000005408: 021E1F7F
	v_add_f32_e32 v38, v15, v38                                // 00000000540C: 024C4D0F
	s_waitcnt lgkmcnt(0)                                       // 000000005410: BF8CC07F
	v_max3_f32 v48, |v64|, |v65|, v48                          // 000000005414: D1D30330 04C28340
	v_max3_f32 v48, |v66|, |v67|, v48                          // 00000000541C: D1D30330 04C28742
	v_max3_f32 v48, |v68|, |v69|, v48                          // 000000005424: D1D30330 04C28B44
	v_max3_f32 v48, |v70|, |v71|, v48                          // 00000000542C: D1D30330 04C28F46
	v_max3_f32 v48, |v72|, |v73|, v48                          // 000000005434: D1D30330 04C29348
	v_max3_f32 v48, |v74|, |v75|, v48                          // 00000000543C: D1D30330 04C2974A
	v_max3_f32 v48, |v76|, |v77|, v48                          // 000000005444: D1D30330 04C29B4C
	v_max3_f32 v48, |v78|, |v79|, v48                          // 00000000544C: D1D30330 04C29F4E
	s_nop 2                                                    // 000000005454: BF800002
	v_rcp_f32_e32 v48, v48                                     // 000000005458: 7E604530
	s_nop 1                                                    // 00000000545C: BF800001
	v_mul_f32_e32 v48, 0x43700000, v48                         // 000000005460: 0A6060FF 43700000
	v_mul_f32_e32 v112, v48, v240                              // 000000005468: 0AE1E130
	v_mul_f32_e32 v113, v48, v241                              // 00000000546C: 0AE3E330
	v_mul_f32_e32 v114, v48, v242                              // 000000005470: 0AE5E530
	v_mul_f32_e32 v115, v48, v243                              // 000000005474: 0AE7E730
	v_mul_f32_e32 v116, v48, v244                              // 000000005478: 0AE9E930
	v_mul_f32_e32 v117, v48, v245                              // 00000000547C: 0AEBEB30
	v_mul_f32_e32 v118, v48, v246                              // 000000005480: 0AEDED30
	v_mul_f32_e32 v119, v48, v247                              // 000000005484: 0AEFEF30
	v_mul_f32_e32 v120, v48, v248                              // 000000005488: 0AF1F130
	v_mul_f32_e32 v121, v48, v249                              // 00000000548C: 0AF3F330
	v_mul_f32_e32 v122, v48, v250                              // 000000005490: 0AF5F530
	v_mul_f32_e32 v123, v48, v251                              // 000000005494: 0AF7F730
	v_mul_f32_e32 v124, v48, v252                              // 000000005498: 0AF9F930
	v_mul_f32_e32 v125, v48, v253                              // 00000000549C: 0AFBFB30
	v_mul_f32_e32 v126, v48, v254                              // 0000000054A0: 0AFDFD30
	v_mul_f32_e32 v127, v48, v255                              // 0000000054A4: 0AFFFF30
	v_cvt_pk_fp8_f32 v112, v112, v113                          // 0000000054A8: D2A20070 0002E370
	v_cvt_pk_fp8_f32 v112, v114, v115 op_sel:[0,0,1]           // 0000000054B0: D2A24070 0002E772
	v_cvt_pk_fp8_f32 v113, v116, v117                          // 0000000054B8: D2A20071 0002EB74
	v_cvt_pk_fp8_f32 v113, v118, v119 op_sel:[0,0,1]           // 0000000054C0: D2A24071 0002EF76
	v_cvt_pk_fp8_f32 v114, v120, v121                          // 0000000054C8: D2A20072 0002F378
	v_cvt_pk_fp8_f32 v114, v122, v123 op_sel:[0,0,1]           // 0000000054D0: D2A24072 0002F77A
	v_cvt_pk_fp8_f32 v115, v124, v125                          // 0000000054D8: D2A20073 0002FB7C
	v_cvt_pk_fp8_f32 v115, v126, v127 op_sel:[0,0,1]           // 0000000054E0: D2A24073 0002FF7E
	ds_write_b32 v10, v112 offset:25088                        // 0000000054E8: D81A6200 0000700A
	ds_write_b32 v10, v113 offset:26112                        // 0000000054F0: D81A6600 0000710A
	ds_write_b32 v10, v114 offset:27136                        // 0000000054F8: D81A6A00 0000720A
	ds_write_b32 v10, v115 offset:28160                        // 000000005500: D81A6E00 0000730A
	v_add_f32_e32 v208, v208, v176                             // 000000005508: 03A161D0
	v_add_f32_e32 v209, v209, v177                             // 00000000550C: 03A363D1
	v_add_f32_e32 v210, v210, v178                             // 000000005510: 03A565D2
	v_add_f32_e32 v211, v211, v179                             // 000000005514: 03A767D3
	v_add_f32_e32 v212, v212, v180                             // 000000005518: 03A969D4
	v_add_f32_e32 v213, v213, v181                             // 00000000551C: 03AB6BD5
	v_add_f32_e32 v214, v214, v182                             // 000000005520: 03AD6DD6
	v_add_f32_e32 v215, v215, v183                             // 000000005524: 03AF6FD7
	v_rcp_f32_e32 v44, v48                                     // 000000005528: 7E584530
	s_waitcnt lgkmcnt(0)                                       // 00000000552C: BF8CC07F
	s_barrier                                                  // 000000005530: BF8A0000
	ds_read_b64 v[112:113], v9 offset:25088                    // 000000005534: D8EC6200 70000009
	ds_read_b64 v[114:115], v9 offset:25216                    // 00000000553C: D8EC6280 72000009
	ds_read_b64 v[116:117], v9 offset:26112                    // 000000005544: D8EC6600 74000009
	ds_read_b64 v[118:119], v9 offset:26240                    // 00000000554C: D8EC6680 76000009
	ds_read_b64 v[120:121], v9 offset:27136                    // 000000005554: D8EC6A00 78000009
	ds_read_b64 v[122:123], v9 offset:27264                    // 00000000555C: D8EC6A80 7A000009
	ds_read_b64 v[124:125], v9 offset:28160                    // 000000005564: D8EC6E00 7C000009
	ds_read_b64 v[126:127], v9 offset:28288                    // 00000000556C: D8EC6E80 7E000009
	s_waitcnt vmcnt(15)                                        // 000000005574: BF8C0F7F
	s_waitcnt lgkmcnt(7)                                       // 000000005578: BF8CC77F
	v_mfma_f32_16x16x32_fp8_fp8 v[176:179], a[96:97], v[112:113], 0// 00000000557C: D3F300B0 0A02E160
	buffer_load_dwordx4 a[80:83], v30, s[20:23], 0 offen offset:1024// 000000005584: E05C1400 8085501E
	s_waitcnt lgkmcnt(6)                                       // 00000000558C: BF8CC67F
	v_mfma_f32_16x16x32_fp8_fp8 v[176:179], a[98:99], v[114:115], v[176:179]// 000000005590: D3F300B0 0EC2E562
	s_waitcnt lgkmcnt(5)                                       // 000000005598: BF8CC57F
	v_mfma_f32_16x16x32_fp8_fp8 v[176:179], a[100:101], v[116:117], v[176:179]// 00000000559C: D3F300B0 0EC2E964
	s_waitcnt lgkmcnt(4)                                       // 0000000055A4: BF8CC47F
	v_mfma_f32_16x16x32_fp8_fp8 v[176:179], a[102:103], v[118:119], v[176:179]// 0000000055A8: D3F300B0 0EC2ED66
	s_waitcnt lgkmcnt(3)                                       // 0000000055B0: BF8CC37F
	v_mfma_f32_16x16x32_fp8_fp8 v[176:179], a[104:105], v[120:121], v[176:179]// 0000000055B4: D3F300B0 0EC2F168
	buffer_load_dwordx4 a[84:87], v31, s[20:23], 0 offen offset:1024// 0000000055BC: E05C1400 8085541F
	s_waitcnt lgkmcnt(2)                                       // 0000000055C4: BF8CC27F
	v_mfma_f32_16x16x32_fp8_fp8 v[176:179], a[106:107], v[122:123], v[176:179]// 0000000055C8: D3F300B0 0EC2F56A
	s_waitcnt lgkmcnt(1)                                       // 0000000055D0: BF8CC17F
	v_mfma_f32_16x16x32_fp8_fp8 v[176:179], a[108:109], v[124:125], v[176:179]// 0000000055D4: D3F300B0 0EC2F96C
	s_waitcnt lgkmcnt(0)                                       // 0000000055DC: BF8CC07F
	v_mfma_f32_16x16x32_fp8_fp8 v[176:179], a[110:111], v[126:127], v[176:179]// 0000000055E0: D3F300B0 0EC2FD6E
	v_mfma_f32_16x16x32_fp8_fp8 v[180:183], a[112:113], v[112:113], 0// 0000000055E8: D3F300B4 0A02E170
	buffer_load_dwordx4 a[88:91], v32, s[20:23], 0 offen offset:1024// 0000000055F0: E05C1400 80855820
	v_mfma_f32_16x16x32_fp8_fp8 v[180:183], a[114:115], v[114:115], v[180:183]// 0000000055F8: D3F300B4 0ED2E572
	v_mfma_f32_16x16x32_fp8_fp8 v[180:183], a[116:117], v[116:117], v[180:183]// 000000005600: D3F300B4 0ED2E974
	v_mfma_f32_16x16x32_fp8_fp8 v[180:183], a[118:119], v[118:119], v[180:183]// 000000005608: D3F300B4 0ED2ED76
	v_mfma_f32_16x16x32_fp8_fp8 v[180:183], a[120:121], v[120:121], v[180:183]// 000000005610: D3F300B4 0ED2F178
	buffer_load_dwordx4 a[92:95], v33, s[20:23], 0 offen offset:1024// 000000005618: E05C1400 80855C21
	v_mfma_f32_16x16x32_fp8_fp8 v[180:183], a[122:123], v[122:123], v[180:183]// 000000005620: D3F300B4 0ED2F57A
	v_mfma_f32_16x16x32_fp8_fp8 v[180:183], a[124:125], v[124:125], v[180:183]// 000000005628: D3F300B4 0ED2F97C
	s_lshr_b32 s57, s70, 4                                     // 000000005630: 8F398446
	s_add_u32 s57, 48, s57                                     // 000000005634: 803939B0
	v_mfma_f32_16x16x32_fp8_fp8 v[180:183], a[126:127], v[126:127], v[180:183]// 000000005638: D3F300B4 0ED2FD7E
	s_cmp_ge_u32 s57, s73                                      // 000000005640: BF094939
	s_cselect_b32 s56, 0, s56                                  // 000000005644: 85383880
	v_add_u32_e32 v1, s56, v1                                  // 000000005648: 68020238
	s_addk_i32 s70, 0x100                                      // 00000000564C: B7460100
	s_cmp_lt_i32 s70, s71                                      // 000000005650: BF044746
	s_cbranch_scc0 label_078F                                  // 000000005654: BF84FA79
	s_branch label_0792                                        // 000000005658: BF82FA7B

000000000000565c <label_0D17>:
	s_lshr_b32 s60, s71, 4                                     // 00000000565C: 8F3C8447
	s_cmp_eq_i32 s60, s73                                      // 000000005660: BF00493C
	s_cbranch_scc1 label_1302                                  // 000000005664: BF8505E8
	s_lshr_b32 s60, s71, 8                                     // 000000005668: 8F3C8847
	s_and_b32 s60, s60, 1                                      // 00000000566C: 863C813C
	s_cmp_eq_i32 s60, 1                                        // 000000005670: BF00813C
	s_cbranch_scc1 label_1010                                  // 000000005674: BF8502F2
	s_waitcnt vmcnt(8) lgkmcnt(0)                              // 000000005678: BF8C0078
	s_barrier                                                  // 00000000567C: BF8A0000
	v_mfma_f32_16x16x32_fp8_fp8 v[112:115], a[0:1], v[80:81], 0// 000000005680: D3F30070 0A02A100
	v_mfma_f32_16x16x32_fp8_fp8 v[112:115], a[2:3], v[82:83], v[112:115]// 000000005688: D3F30070 0DC2A502
	v_mfma_f32_16x16x32_fp8_fp8 v[112:115], a[4:5], v[84:85], v[112:115]// 000000005690: D3F30070 0DC2A904
	v_mfma_f32_16x16x32_fp8_fp8 v[112:115], a[6:7], v[86:87], v[112:115]// 000000005698: D3F30070 0DC2AD06
	v_mfma_f32_16x16x32_fp8_fp8 v[116:119], a[8:9], v[80:81], 0// 0000000056A0: D3F30074 0A02A108
	v_mfma_f32_16x16x32_fp8_fp8 v[116:119], a[10:11], v[82:83], v[116:119]// 0000000056A8: D3F30074 0DD2A50A
	v_mfma_f32_16x16x32_fp8_fp8 v[116:119], a[12:13], v[84:85], v[116:119]// 0000000056B0: D3F30074 0DD2A90C
	v_mfma_f32_16x16x32_fp8_fp8 v[116:119], a[14:15], v[86:87], v[116:119]// 0000000056B8: D3F30074 0DD2AD0E
	v_mfma_f32_16x16x32_fp8_fp8 v[120:123], a[16:17], v[80:81], 0// 0000000056C0: D3F30078 0A02A110
	v_mfma_f32_16x16x32_fp8_fp8 v[120:123], a[18:19], v[82:83], v[120:123]// 0000000056C8: D3F30078 0DE2A512
	v_mfma_f32_16x16x32_fp8_fp8 v[120:123], a[20:21], v[84:85], v[120:123]// 0000000056D0: D3F30078 0DE2A914
	v_mfma_f32_16x16x32_fp8_fp8 v[120:123], a[22:23], v[86:87], v[120:123]// 0000000056D8: D3F30078 0DE2AD16
	v_mfma_f32_16x16x32_fp8_fp8 v[124:127], a[24:25], v[80:81], 0// 0000000056E0: D3F3007C 0A02A118
	v_mfma_f32_16x16x32_fp8_fp8 v[124:127], a[26:27], v[82:83], v[124:127]// 0000000056E8: D3F3007C 0DF2A51A
	v_mfma_f32_16x16x32_fp8_fp8 v[124:127], a[28:29], v[84:85], v[124:127]// 0000000056F0: D3F3007C 0DF2A91C
	v_mfma_f32_16x16x32_fp8_fp8 v[124:127], a[30:31], v[86:87], v[124:127]// 0000000056F8: D3F3007C 0DF2AD1E
	v_mov_b32_dpp v64, v42 row_shr:4 row_mask:0xf bank_mask:0xf// 000000005700: 7E8002FA FF01142A
	v_mov_b32_dpp v65, v42 row_shl:4 row_mask:0xf bank_mask:0xf// 000000005708: 7E8202FA FF01042A
	v_cndmask_b32_e64 v248, v42, v64, s[44:45]                 // 000000005710: D10000F8 00B2812A
	v_cndmask_b32_e64 v249, v65, v42, s[44:45]                 // 000000005718: D10000F9 00B25541
	v_mov_b32_dpp v64, v248 row_shr:8 row_mask:0xf bank_mask:0xf// 000000005720: 7E8002FA FF0118F8
	v_mov_b32_dpp v65, v248 row_shl:8 row_mask:0xf bank_mask:0xf// 000000005728: 7E8202FA FF0108F8
	v_mov_b32_dpp v66, v249 row_shr:8 row_mask:0xf bank_mask:0xf// 000000005730: 7E8402FA FF0118F9
	v_mov_b32_dpp v67, v249 row_shl:8 row_mask:0xf bank_mask:0xf// 000000005738: 7E8602FA FF0108F9
	v_mov_b32_e32 v68, v248                                    // 000000005740: 7E8803F8
	v_mov_b32_e32 v69, v249                                    // 000000005744: 7E8A03F9
	v_cndmask_b32_e64 v248, v68, v64, s[42:43]                 // 000000005748: D10000F8 00AA8144
	v_cndmask_b32_e64 v250, v68, v65, s[78:79]                 // 000000005750: D10000FA 013A8344
	v_cndmask_b32_e64 v249, v69, v66, s[42:43]                 // 000000005758: D10000F9 00AA8545
	v_cndmask_b32_e64 v251, v69, v67, s[78:79]                 // 000000005760: D10000FB 013A8745
	v_mov_b32_dpp v64, v57 row_shr:4 row_mask:0xf bank_mask:0xf// 000000005768: 7E8002FA FF011439
	v_mov_b32_dpp v65, v57 row_shl:4 row_mask:0xf bank_mask:0xf// 000000005770: 7E8202FA FF010439
	v_cndmask_b32_e64 v252, v57, v64, s[44:45]                 // 000000005778: D10000FC 00B28139
	v_cndmask_b32_e64 v253, v65, v57, s[44:45]                 // 000000005780: D10000FD 00B27341
	v_mov_b32_dpp v64, v252 row_shr:8 row_mask:0xf bank_mask:0xf// 000000005788: 7E8002FA FF0118FC
	v_mov_b32_dpp v65, v252 row_shl:8 row_mask:0xf bank_mask:0xf// 000000005790: 7E8202FA FF0108FC
	v_mov_b32_dpp v66, v253 row_shr:8 row_mask:0xf bank_mask:0xf// 000000005798: 7E8402FA FF0118FD
	v_mov_b32_dpp v67, v253 row_shl:8 row_mask:0xf bank_mask:0xf// 0000000057A0: 7E8602FA FF0108FD
	v_mov_b32_e32 v68, v252                                    // 0000000057A8: 7E8803FC
	v_mov_b32_e32 v69, v253                                    // 0000000057AC: 7E8A03FD
	v_cndmask_b32_e64 v252, v68, v64, s[42:43]                 // 0000000057B0: D10000FC 00AA8144
	v_cndmask_b32_e64 v254, v68, v65, s[78:79]                 // 0000000057B8: D10000FE 013A8344
	v_cndmask_b32_e64 v253, v69, v66, s[42:43]                 // 0000000057C0: D10000FD 00AA8545
	v_cndmask_b32_e64 v255, v69, v67, s[78:79]                 // 0000000057C8: D10000FF 013A8745
	v_mul_f32_e32 v112, v18, v112                              // 0000000057D0: 0AE0E112
	v_mul_f32_e32 v113, v18, v113                              // 0000000057D4: 0AE2E312
	v_mul_f32_e32 v114, v18, v114                              // 0000000057D8: 0AE4E512
	v_mul_f32_e32 v115, v18, v115                              // 0000000057DC: 0AE6E712
	v_mul_f32_e32 v116, v18, v116                              // 0000000057E0: 0AE8E912
	v_mul_f32_e32 v117, v18, v117                              // 0000000057E4: 0AEAEB12
	v_mul_f32_e32 v118, v18, v118                              // 0000000057E8: 0AECED12
	v_mul_f32_e32 v119, v18, v119                              // 0000000057EC: 0AEEEF12
	v_mul_f32_e32 v120, v18, v120                              // 0000000057F0: 0AF0F112
	v_mul_f32_e32 v121, v18, v121                              // 0000000057F4: 0AF2F312
	v_mul_f32_e32 v122, v18, v122                              // 0000000057F8: 0AF4F512
	v_mul_f32_e32 v123, v18, v123                              // 0000000057FC: 0AF6F712
	v_mul_f32_e32 v124, v18, v124                              // 000000005800: 0AF8F912
	v_mul_f32_e32 v125, v18, v125                              // 000000005804: 0AFAFB12
	v_mul_f32_e32 v126, v18, v126                              // 000000005808: 0AFCFD12
	v_mul_f32_e32 v127, v18, v127                              // 00000000580C: 0AFEFF12
	v_mul_f32_dpp v112, v248, v112 quad_perm:[0,0,0,0] row_mask:0xf bank_mask:0xf// 000000005810: 0AE0E0FA FF0000F8
	v_mul_f32_dpp v113, v248, v113 quad_perm:[1,1,1,1] row_mask:0xf bank_mask:0xf// 000000005818: 0AE2E2FA FF0055F8
	v_mul_f32_dpp v114, v248, v114 quad_perm:[2,2,2,2] row_mask:0xf bank_mask:0xf// 000000005820: 0AE4E4FA FF00AAF8
	v_mul_f32_dpp v115, v248, v115 quad_perm:[3,3,3,3] row_mask:0xf bank_mask:0xf// 000000005828: 0AE6E6FA FF00FFF8
	v_mul_f32_dpp v116, v249, v116 quad_perm:[0,0,0,0] row_mask:0xf bank_mask:0xf// 000000005830: 0AE8E8FA FF0000F9
	v_mul_f32_dpp v117, v249, v117 quad_perm:[1,1,1,1] row_mask:0xf bank_mask:0xf// 000000005838: 0AEAEAFA FF0055F9
	v_mul_f32_dpp v118, v249, v118 quad_perm:[2,2,2,2] row_mask:0xf bank_mask:0xf// 000000005840: 0AECECFA FF00AAF9
	v_mul_f32_dpp v119, v249, v119 quad_perm:[3,3,3,3] row_mask:0xf bank_mask:0xf// 000000005848: 0AEEEEFA FF00FFF9
	v_mul_f32_dpp v120, v250, v120 quad_perm:[0,0,0,0] row_mask:0xf bank_mask:0xf// 000000005850: 0AF0F0FA FF0000FA
	v_mul_f32_dpp v121, v250, v121 quad_perm:[1,1,1,1] row_mask:0xf bank_mask:0xf// 000000005858: 0AF2F2FA FF0055FA
	v_mul_f32_dpp v122, v250, v122 quad_perm:[2,2,2,2] row_mask:0xf bank_mask:0xf// 000000005860: 0AF4F4FA FF00AAFA
	v_mul_f32_dpp v123, v250, v123 quad_perm:[3,3,3,3] row_mask:0xf bank_mask:0xf// 000000005868: 0AF6F6FA FF00FFFA
	v_mul_f32_dpp v124, v251, v124 quad_perm:[0,0,0,0] row_mask:0xf bank_mask:0xf// 000000005870: 0AF8F8FA FF0000FB
	v_mul_f32_dpp v125, v251, v125 quad_perm:[1,1,1,1] row_mask:0xf bank_mask:0xf// 000000005878: 0AFAFAFA FF0055FB
	v_mul_f32_dpp v126, v251, v126 quad_perm:[2,2,2,2] row_mask:0xf bank_mask:0xf// 000000005880: 0AFCFCFA FF00AAFB
	v_mul_f32_dpp v127, v251, v127 quad_perm:[3,3,3,3] row_mask:0xf bank_mask:0xf// 000000005888: 0AFEFEFA FF00FFFB
	s_cmp_le_i32 s90, s89                                      // 000000005890: BF05595A
	s_cbranch_scc1 label_0E17                                  // 000000005894: BF850071
	v_mov_b32_e32 v66, 0xff800000                              // 000000005898: 7E8402FF FF800000
	s_mov_b32 s60, s90                                         // 0000000058A0: BEBC005A
	s_add_u32 s61, s89, 0xff                                   // 0000000058A4: 803DFF59 000000FF
	v_mov_b32_e32 v64, s61                                     // 0000000058AC: 7E80023D
	v_lshrrev_b32_e32 v240, 4, v0                              // 0000000058B0: 21E00084
	v_mul_i32_i24_e32 v240, 4, v240                            // 0000000058B4: 0DE1E084
	v_add_u32_e32 v240, s60, v240                              // 0000000058B8: 69E1E03C
	s_mov_b32 s61, 0                                           // 0000000058BC: BEBD0080
	s_mul_i32 s60, 16, s7                                      // 0000000058C0: 923C0790
	v_sub_u32_e64 v240, v240, s61                              // 0000000058C4: D13500F0 00007BF0
	v_add_u32_e32 v240, s60, v240                              // 0000000058CC: 69E1E03C
	v_add_u32_e32 v241, 1, v240                                // 0000000058D0: 69E3E081
	v_add_u32_e32 v242, 2, v240                                // 0000000058D4: 69E5E082
	v_add_u32_e32 v243, 3, v240                                // 0000000058D8: 69E7E083
	v_cmp_le_u32_e64 s[40:41], v240, v64                       // 0000000058DC: D0CB0028 000281F0
	v_add_u32_e32 v240, 64, v240                               // 0000000058E4: 69E1E0C0
	s_nop 0                                                    // 0000000058E8: BF800000
	v_cndmask_b32_e64 v112, v66, v112, s[40:41]                // 0000000058EC: D1000070 00A2E142
	v_cmp_le_u32_e64 s[40:41], v241, v64                       // 0000000058F4: D0CB0028 000281F1
	v_add_u32_e32 v241, 64, v241                               // 0000000058FC: 69E3E2C0
	s_nop 0                                                    // 000000005900: BF800000
	v_cndmask_b32_e64 v113, v66, v113, s[40:41]                // 000000005904: D1000071 00A2E342
	v_cmp_le_u32_e64 s[40:41], v242, v64                       // 00000000590C: D0CB0028 000281F2
	v_add_u32_e32 v242, 64, v242                               // 000000005914: 69E5E4C0
	s_nop 0                                                    // 000000005918: BF800000
	v_cndmask_b32_e64 v114, v66, v114, s[40:41]                // 00000000591C: D1000072 00A2E542
	v_cmp_le_u32_e64 s[40:41], v243, v64                       // 000000005924: D0CB0028 000281F3
	v_add_u32_e32 v243, 64, v243                               // 00000000592C: 69E7E6C0
	s_nop 0                                                    // 000000005930: BF800000
	v_cndmask_b32_e64 v115, v66, v115, s[40:41]                // 000000005934: D1000073 00A2E742
	v_cmp_le_u32_e64 s[40:41], v240, v64                       // 00000000593C: D0CB0028 000281F0
	v_add_u32_e32 v240, 64, v240                               // 000000005944: 69E1E0C0
	s_nop 0                                                    // 000000005948: BF800000
	v_cndmask_b32_e64 v116, v66, v116, s[40:41]                // 00000000594C: D1000074 00A2E942
	v_cmp_le_u32_e64 s[40:41], v241, v64                       // 000000005954: D0CB0028 000281F1
	v_add_u32_e32 v241, 64, v241                               // 00000000595C: 69E3E2C0
	s_nop 0                                                    // 000000005960: BF800000
	v_cndmask_b32_e64 v117, v66, v117, s[40:41]                // 000000005964: D1000075 00A2EB42
	v_cmp_le_u32_e64 s[40:41], v242, v64                       // 00000000596C: D0CB0028 000281F2
	v_add_u32_e32 v242, 64, v242                               // 000000005974: 69E5E4C0
	s_nop 0                                                    // 000000005978: BF800000
	v_cndmask_b32_e64 v118, v66, v118, s[40:41]                // 00000000597C: D1000076 00A2ED42
	v_cmp_le_u32_e64 s[40:41], v243, v64                       // 000000005984: D0CB0028 000281F3
	v_add_u32_e32 v243, 64, v243                               // 00000000598C: 69E7E6C0
	s_nop 0                                                    // 000000005990: BF800000
	v_cndmask_b32_e64 v119, v66, v119, s[40:41]                // 000000005994: D1000077 00A2EF42
	v_cmp_le_u32_e64 s[40:41], v240, v64                       // 00000000599C: D0CB0028 000281F0
	v_add_u32_e32 v240, 64, v240                               // 0000000059A4: 69E1E0C0
	s_nop 0                                                    // 0000000059A8: BF800000
	v_cndmask_b32_e64 v120, v66, v120, s[40:41]                // 0000000059AC: D1000078 00A2F142
	v_cmp_le_u32_e64 s[40:41], v241, v64                       // 0000000059B4: D0CB0028 000281F1
	v_add_u32_e32 v241, 64, v241                               // 0000000059BC: 69E3E2C0
	s_nop 0                                                    // 0000000059C0: BF800000
	v_cndmask_b32_e64 v121, v66, v121, s[40:41]                // 0000000059C4: D1000079 00A2F342
	v_cmp_le_u32_e64 s[40:41], v242, v64                       // 0000000059CC: D0CB0028 000281F2
	v_add_u32_e32 v242, 64, v242                               // 0000000059D4: 69E5E4C0
	s_nop 0                                                    // 0000000059D8: BF800000
	v_cndmask_b32_e64 v122, v66, v122, s[40:41]                // 0000000059DC: D100007A 00A2F542
	v_cmp_le_u32_e64 s[40:41], v243, v64                       // 0000000059E4: D0CB0028 000281F3
	v_add_u32_e32 v243, 64, v243                               // 0000000059EC: 69E7E6C0
	s_nop 0                                                    // 0000000059F0: BF800000
	v_cndmask_b32_e64 v123, v66, v123, s[40:41]                // 0000000059F4: D100007B 00A2F742
	v_cmp_le_u32_e64 s[40:41], v240, v64                       // 0000000059FC: D0CB0028 000281F0
	v_add_u32_e32 v240, 64, v240                               // 000000005A04: 69E1E0C0
	s_nop 0                                                    // 000000005A08: BF800000
	v_cndmask_b32_e64 v124, v66, v124, s[40:41]                // 000000005A0C: D100007C 00A2F942
	v_cmp_le_u32_e64 s[40:41], v241, v64                       // 000000005A14: D0CB0028 000281F1
	v_add_u32_e32 v241, 64, v241                               // 000000005A1C: 69E3E2C0
	s_nop 0                                                    // 000000005A20: BF800000
	v_cndmask_b32_e64 v125, v66, v125, s[40:41]                // 000000005A24: D100007D 00A2FB42
	v_cmp_le_u32_e64 s[40:41], v242, v64                       // 000000005A2C: D0CB0028 000281F2
	v_add_u32_e32 v242, 64, v242                               // 000000005A34: 69E5E4C0
	s_nop 0                                                    // 000000005A38: BF800000
	v_cndmask_b32_e64 v126, v66, v126, s[40:41]                // 000000005A3C: D100007E 00A2FD42
	v_cmp_le_u32_e64 s[40:41], v243, v64                       // 000000005A44: D0CB0028 000281F3
	v_add_u32_e32 v243, 64, v243                               // 000000005A4C: 69E7E6C0
	s_nop 0                                                    // 000000005A50: BF800000
	v_cndmask_b32_e64 v127, v66, v127, s[40:41]                // 000000005A54: D100007F 00A2FF42

0000000000005a5c <label_0E17>:
	s_add_u32 s90, s91, s90                                    // 000000005A5C: 805A5A5B
	s_and_b32 s60, s72, 0xff                                   // 000000005A60: 863CFF48 000000FF
	v_mov_b32_e32 v65, s60                                     // 000000005A68: 7E82023C
	v_lshrrev_b32_e32 v240, 4, v0                              // 000000005A6C: 21E00084
	v_mul_i32_i24_e32 v240, 4, v240                            // 000000005A70: 0DE1E084
	s_mul_i32 s60, s7, 16                                      // 000000005A74: 923C9007
	v_add_u32_e32 v240, s60, v240                              // 000000005A78: 69E1E03C
	v_add_u32_e32 v241, 1, v240                                // 000000005A7C: 69E3E081
	v_add_u32_e32 v242, 2, v240                                // 000000005A80: 69E5E082
	v_add_u32_e32 v243, 3, v240                                // 000000005A84: 69E7E083
	v_mov_b32_e32 v64, 0xff800000                              // 000000005A88: 7E8002FF FF800000
	v_cmp_lt_u32_e64 s[40:41], v240, v65                       // 000000005A90: D0C90028 000283F0
	v_add_u32_e32 v240, 64, v240                               // 000000005A98: 69E1E0C0
	s_nop 0                                                    // 000000005A9C: BF800000
	v_cndmask_b32_e64 v112, v64, v112, s[40:41]                // 000000005AA0: D1000070 00A2E140
	v_cmp_lt_u32_e64 s[40:41], v241, v65                       // 000000005AA8: D0C90028 000283F1
	v_add_u32_e32 v241, 64, v241                               // 000000005AB0: 69E3E2C0
	s_nop 0                                                    // 000000005AB4: BF800000
	v_cndmask_b32_e64 v113, v64, v113, s[40:41]                // 000000005AB8: D1000071 00A2E340
	v_cmp_lt_u32_e64 s[40:41], v242, v65                       // 000000005AC0: D0C90028 000283F2
	v_add_u32_e32 v242, 64, v242                               // 000000005AC8: 69E5E4C0
	s_nop 0                                                    // 000000005ACC: BF800000
	v_cndmask_b32_e64 v114, v64, v114, s[40:41]                // 000000005AD0: D1000072 00A2E540
	v_cmp_lt_u32_e64 s[40:41], v243, v65                       // 000000005AD8: D0C90028 000283F3
	v_add_u32_e32 v243, 64, v243                               // 000000005AE0: 69E7E6C0
	s_nop 0                                                    // 000000005AE4: BF800000
	v_cndmask_b32_e64 v115, v64, v115, s[40:41]                // 000000005AE8: D1000073 00A2E740
	v_cmp_lt_u32_e64 s[40:41], v240, v65                       // 000000005AF0: D0C90028 000283F0
	v_add_u32_e32 v240, 64, v240                               // 000000005AF8: 69E1E0C0
	s_nop 0                                                    // 000000005AFC: BF800000
	v_cndmask_b32_e64 v116, v64, v116, s[40:41]                // 000000005B00: D1000074 00A2E940
	v_cmp_lt_u32_e64 s[40:41], v241, v65                       // 000000005B08: D0C90028 000283F1
	v_add_u32_e32 v241, 64, v241                               // 000000005B10: 69E3E2C0
	s_nop 0                                                    // 000000005B14: BF800000
	v_cndmask_b32_e64 v117, v64, v117, s[40:41]                // 000000005B18: D1000075 00A2EB40
	v_cmp_lt_u32_e64 s[40:41], v242, v65                       // 000000005B20: D0C90028 000283F2
	v_add_u32_e32 v242, 64, v242                               // 000000005B28: 69E5E4C0
	s_nop 0                                                    // 000000005B2C: BF800000
	v_cndmask_b32_e64 v118, v64, v118, s[40:41]                // 000000005B30: D1000076 00A2ED40
	v_cmp_lt_u32_e64 s[40:41], v243, v65                       // 000000005B38: D0C90028 000283F3
	v_add_u32_e32 v243, 64, v243                               // 000000005B40: 69E7E6C0
	s_nop 0                                                    // 000000005B44: BF800000
	v_cndmask_b32_e64 v119, v64, v119, s[40:41]                // 000000005B48: D1000077 00A2EF40
	v_cmp_lt_u32_e64 s[40:41], v240, v65                       // 000000005B50: D0C90028 000283F0
	v_add_u32_e32 v240, 64, v240                               // 000000005B58: 69E1E0C0
	s_nop 0                                                    // 000000005B5C: BF800000
	v_cndmask_b32_e64 v120, v64, v120, s[40:41]                // 000000005B60: D1000078 00A2F140
	v_cmp_lt_u32_e64 s[40:41], v241, v65                       // 000000005B68: D0C90028 000283F1
	v_add_u32_e32 v241, 64, v241                               // 000000005B70: 69E3E2C0
	s_nop 0                                                    // 000000005B74: BF800000
	v_cndmask_b32_e64 v121, v64, v121, s[40:41]                // 000000005B78: D1000079 00A2F340
	v_cmp_lt_u32_e64 s[40:41], v242, v65                       // 000000005B80: D0C90028 000283F2
	v_add_u32_e32 v242, 64, v242                               // 000000005B88: 69E5E4C0
	s_nop 0                                                    // 000000005B8C: BF800000
	v_cndmask_b32_e64 v122, v64, v122, s[40:41]                // 000000005B90: D100007A 00A2F540
	v_cmp_lt_u32_e64 s[40:41], v243, v65                       // 000000005B98: D0C90028 000283F3
	v_add_u32_e32 v243, 64, v243                               // 000000005BA0: 69E7E6C0
	s_nop 0                                                    // 000000005BA4: BF800000
	v_cndmask_b32_e64 v123, v64, v123, s[40:41]                // 000000005BA8: D100007B 00A2F740
	v_cmp_lt_u32_e64 s[40:41], v240, v65                       // 000000005BB0: D0C90028 000283F0
	v_add_u32_e32 v240, 64, v240                               // 000000005BB8: 69E1E0C0
	s_nop 0                                                    // 000000005BBC: BF800000
	v_cndmask_b32_e64 v124, v64, v124, s[40:41]                // 000000005BC0: D100007C 00A2F940
	v_cmp_lt_u32_e64 s[40:41], v241, v65                       // 000000005BC8: D0C90028 000283F1
	v_add_u32_e32 v241, 64, v241                               // 000000005BD0: 69E3E2C0
	s_nop 0                                                    // 000000005BD4: BF800000
	v_cndmask_b32_e64 v125, v64, v125, s[40:41]                // 000000005BD8: D100007D 00A2FB40
	v_cmp_lt_u32_e64 s[40:41], v242, v65                       // 000000005BE0: D0C90028 000283F2
	v_add_u32_e32 v242, 64, v242                               // 000000005BE8: 69E5E4C0
	s_nop 0                                                    // 000000005BEC: BF800000
	v_cndmask_b32_e64 v126, v64, v126, s[40:41]                // 000000005BF0: D100007E 00A2FD40
	v_cmp_lt_u32_e64 s[40:41], v243, v65                       // 000000005BF8: D0C90028 000283F3
	v_add_u32_e32 v243, 64, v243                               // 000000005C00: 69E7E6C0
	s_nop 0                                                    // 000000005C04: BF800000
	v_cndmask_b32_e64 v127, v64, v127, s[40:41]                // 000000005C08: D100007F 00A2FF40
	v_mov_b32_e32 v48, v112                                    // 000000005C10: 7E600370
	v_max3_f32 v48, v112, v113, v48                            // 000000005C14: D1D30030 04C2E370
	v_max3_f32 v48, v114, v115, v48                            // 000000005C1C: D1D30030 04C2E772
	v_max3_f32 v48, v116, v117, v48                            // 000000005C24: D1D30030 04C2EB74
	v_max3_f32 v48, v118, v119, v48                            // 000000005C2C: D1D30030 04C2EF76
	v_max3_f32 v48, v120, v121, v48                            // 000000005C34: D1D30030 04C2F378
	v_max3_f32 v48, v122, v123, v48                            // 000000005C3C: D1D30030 04C2F77A
	v_max3_f32 v48, v124, v125, v48                            // 000000005C44: D1D30030 04C2FB7C
	v_max3_f32 v48, v126, v127, v48                            // 000000005C4C: D1D30030 04C2FF7E
	ds_write_b32 v8, v48 offset:16896                          // 000000005C54: D81A4200 00003008
	v_mul_u32_u24_dpp v64, v17, v54 row_newbcast:1 row_mask:0xf bank_mask:0xf// 000000005C5C: 10806CFA FF015111
	v_mul_u32_u24_dpp v65, v17, v54 row_newbcast:5 row_mask:0xf bank_mask:0xf// 000000005C64: 10826CFA FF015511
	v_mul_u32_u24_dpp v66, v17, v54 row_newbcast:9 row_mask:0xf bank_mask:0xf// 000000005C6C: 10846CFA FF015911
	v_mul_u32_u24_dpp v67, v17, v54 row_newbcast:13 row_mask:0xf bank_mask:0xf// 000000005C74: 10866CFA FF015D11
	v_add_u32_e32 v34, v64, v6                                 // 000000005C7C: 68440D40
	v_add_u32_e32 v35, v65, v6                                 // 000000005C80: 68460D41
	v_add_u32_e32 v36, v66, v6                                 // 000000005C84: 68480D42
	v_add_u32_e32 v37, v67, v6                                 // 000000005C88: 684A0D43
	v_mul_f32_e32 v208, v49, v208                              // 000000005C8C: 0BA1A131
	v_mul_f32_e32 v209, v49, v209                              // 000000005C90: 0BA3A331
	v_mul_f32_e32 v210, v49, v210                              // 000000005C94: 0BA5A531
	v_mul_f32_e32 v211, v49, v211                              // 000000005C98: 0BA7A731
	v_mul_f32_e32 v212, v49, v212                              // 000000005C9C: 0BA9A931
	v_mul_f32_e32 v213, v49, v213                              // 000000005CA0: 0BABAB31
	v_mul_f32_e32 v214, v49, v214                              // 000000005CA4: 0BADAD31
	v_mul_f32_e32 v215, v49, v215                              // 000000005CA8: 0BAFAF31
	s_waitcnt lgkmcnt(0)                                       // 000000005CAC: BF8CC07F
	s_barrier                                                  // 000000005CB0: BF8A0000
	ds_read_b32 v64, v7 offset:16896                           // 000000005CB4: D86C4200 40000007
	ds_read_b32 v65, v7 offset:16960                           // 000000005CBC: D86C4240 41000007
	ds_read_b32 v66, v7 offset:17024                           // 000000005CC4: D86C4280 42000007
	ds_read_b32 v67, v7 offset:17088                           // 000000005CCC: D86C42C0 43000007
	ds_read_b32 v68, v7 offset:17152                           // 000000005CD4: D86C4300 44000007
	ds_read_b32 v69, v7 offset:17216                           // 000000005CDC: D86C4340 45000007
	ds_read_b32 v70, v7 offset:17280                           // 000000005CE4: D86C4380 46000007
	ds_read_b32 v71, v7 offset:17344                           // 000000005CEC: D86C43C0 47000007
	ds_read_b32 v72, v7 offset:17408                           // 000000005CF4: D86C4400 48000007
	ds_read_b32 v73, v7 offset:17472                           // 000000005CFC: D86C4440 49000007
	ds_read_b32 v74, v7 offset:17536                           // 000000005D04: D86C4480 4A000007
	ds_read_b32 v75, v7 offset:17600                           // 000000005D0C: D86C44C0 4B000007
	ds_read_b32 v76, v7 offset:17664                           // 000000005D14: D86C4500 4C000007
	ds_read_b32 v77, v7 offset:17728                           // 000000005D1C: D86C4540 4D000007
	ds_read_b32 v78, v7 offset:17792                           // 000000005D24: D86C4580 4E000007
	ds_read_b32 v79, v7 offset:17856                           // 000000005D2C: D86C45C0 4F000007
	v_mul_f32_e32 v176, v44, v176                              // 000000005D34: 0B61612C
	v_mul_f32_e32 v177, v44, v177                              // 000000005D38: 0B63632C
	v_mul_f32_e32 v178, v44, v178                              // 000000005D3C: 0B65652C
	v_mul_f32_e32 v179, v44, v179                              // 000000005D40: 0B67672C
	v_mul_f32_e32 v180, v44, v180                              // 000000005D44: 0B69692C
	v_mul_f32_e32 v181, v44, v181                              // 000000005D48: 0B6B6B2C
	v_mul_f32_e32 v182, v44, v182                              // 000000005D4C: 0B6D6D2C
	v_mul_f32_e32 v183, v44, v183                              // 000000005D50: 0B6F6F2C
	s_waitcnt lgkmcnt(0)                                       // 000000005D54: BF8CC07F
	v_max3_f32 v48, v64, v65, v48                              // 000000005D58: D1D30030 04C28340
	v_max3_f32 v48, v66, v67, v48                              // 000000005D60: D1D30030 04C28742
	v_max3_f32 v48, v68, v69, v48                              // 000000005D68: D1D30030 04C28B44
	v_max3_f32 v48, v70, v71, v48                              // 000000005D70: D1D30030 04C28F46
	v_max3_f32 v48, v72, v73, v48                              // 000000005D78: D1D30030 04C29348
	v_max3_f32 v48, v74, v75, v48                              // 000000005D80: D1D30030 04C2974A
	v_max3_f32 v48, v76, v77, v48                              // 000000005D88: D1D30030 04C29B4C
	v_max3_f32 v48, v78, v79, v48                              // 000000005D90: D1D30030 04C29F4E
	v_mov_b32_e32 v64, 0xff800000                              // 000000005D98: 7E8002FF FF800000
	v_cmp_eq_u32_e64 s[40:41], v64, v11                        // 000000005DA0: D0CA0028 00021740
	s_nop 1                                                    // 000000005DA8: BF800001
	v_max_f32_e32 v15, v48, v11                                // 000000005DAC: 161E1730
	v_mul_f32_e32 v53, s64, v15                                // 000000005DB0: 0A6A1E40
	v_fma_f32 v112, v112, s64, -v53                            // 000000005DB4: D1CB0070 84D48170
	v_fma_f32 v113, v113, s64, -v53                            // 000000005DBC: D1CB0071 84D48171
	v_fma_f32 v114, v114, s64, -v53                            // 000000005DC4: D1CB0072 84D48172
	v_fma_f32 v115, v115, s64, -v53                            // 000000005DCC: D1CB0073 84D48173
	v_fma_f32 v116, v116, s64, -v53                            // 000000005DD4: D1CB0074 84D48174
	v_fma_f32 v117, v117, s64, -v53                            // 000000005DDC: D1CB0075 84D48175
	v_fma_f32 v118, v118, s64, -v53                            // 000000005DE4: D1CB0076 84D48176
	v_fma_f32 v119, v119, s64, -v53                            // 000000005DEC: D1CB0077 84D48177
	v_fma_f32 v120, v120, s64, -v53                            // 000000005DF4: D1CB0078 84D48178
	v_fma_f32 v121, v121, s64, -v53                            // 000000005DFC: D1CB0079 84D48179
	v_fma_f32 v122, v122, s64, -v53                            // 000000005E04: D1CB007A 84D4817A
	v_fma_f32 v123, v123, s64, -v53                            // 000000005E0C: D1CB007B 84D4817B
	v_fma_f32 v124, v124, s64, -v53                            // 000000005E14: D1CB007C 84D4817C
	v_fma_f32 v125, v125, s64, -v53                            // 000000005E1C: D1CB007D 84D4817D
	v_fma_f32 v126, v126, s64, -v53                            // 000000005E24: D1CB007E 84D4817E
	v_fma_f32 v127, v127, s64, -v53                            // 000000005E2C: D1CB007F 84D4817F
	v_exp_f32_e32 v112, v112                                   // 000000005E34: 7EE04170
	v_exp_f32_e32 v113, v113                                   // 000000005E38: 7EE24171
	v_exp_f32_e32 v114, v114                                   // 000000005E3C: 7EE44172
	v_exp_f32_e32 v115, v115                                   // 000000005E40: 7EE64173
	v_exp_f32_e32 v116, v116                                   // 000000005E44: 7EE84174
	v_exp_f32_e32 v117, v117                                   // 000000005E48: 7EEA4175
	v_exp_f32_e32 v118, v118                                   // 000000005E4C: 7EEC4176
	v_exp_f32_e32 v119, v119                                   // 000000005E50: 7EEE4177
	v_exp_f32_e32 v120, v120                                   // 000000005E54: 7EF04178
	v_exp_f32_e32 v121, v121                                   // 000000005E58: 7EF24179
	v_exp_f32_e32 v122, v122                                   // 000000005E5C: 7EF4417A
	v_exp_f32_e32 v123, v123                                   // 000000005E60: 7EF6417B
	v_exp_f32_e32 v124, v124                                   // 000000005E64: 7EF8417C
	v_exp_f32_e32 v125, v125                                   // 000000005E68: 7EFA417D
	v_exp_f32_e32 v126, v126                                   // 000000005E6C: 7EFC417E
	v_exp_f32_e32 v127, v127                                   // 000000005E70: 7EFE417F
	v_mul_f32_dpp v240, v252, v112 quad_perm:[0,0,0,0] row_mask:0xf bank_mask:0xf// 000000005E74: 0BE0E0FA FF0000FC
	v_mul_f32_dpp v241, v252, v113 quad_perm:[1,1,1,1] row_mask:0xf bank_mask:0xf// 000000005E7C: 0BE2E2FA FF0055FC
	v_mul_f32_dpp v242, v252, v114 quad_perm:[2,2,2,2] row_mask:0xf bank_mask:0xf// 000000005E84: 0BE4E4FA FF00AAFC
	v_mul_f32_dpp v243, v252, v115 quad_perm:[3,3,3,3] row_mask:0xf bank_mask:0xf// 000000005E8C: 0BE6E6FA FF00FFFC
	v_mul_f32_dpp v244, v253, v116 quad_perm:[0,0,0,0] row_mask:0xf bank_mask:0xf// 000000005E94: 0BE8E8FA FF0000FD
	v_mul_f32_dpp v245, v253, v117 quad_perm:[1,1,1,1] row_mask:0xf bank_mask:0xf// 000000005E9C: 0BEAEAFA FF0055FD
	v_mul_f32_dpp v246, v253, v118 quad_perm:[2,2,2,2] row_mask:0xf bank_mask:0xf// 000000005EA4: 0BECECFA FF00AAFD
	v_mul_f32_dpp v247, v253, v119 quad_perm:[3,3,3,3] row_mask:0xf bank_mask:0xf// 000000005EAC: 0BEEEEFA FF00FFFD
	v_mul_f32_dpp v248, v254, v120 quad_perm:[0,0,0,0] row_mask:0xf bank_mask:0xf// 000000005EB4: 0BF0F0FA FF0000FE
	v_mul_f32_dpp v249, v254, v121 quad_perm:[1,1,1,1] row_mask:0xf bank_mask:0xf// 000000005EBC: 0BF2F2FA FF0055FE
	v_mul_f32_dpp v250, v254, v122 quad_perm:[2,2,2,2] row_mask:0xf bank_mask:0xf// 000000005EC4: 0BF4F4FA FF00AAFE
	v_mul_f32_dpp v251, v254, v123 quad_perm:[3,3,3,3] row_mask:0xf bank_mask:0xf// 000000005ECC: 0BF6F6FA FF00FFFE
	v_mul_f32_dpp v252, v255, v124 quad_perm:[0,0,0,0] row_mask:0xf bank_mask:0xf// 000000005ED4: 0BF8F8FA FF0000FF
	v_mul_f32_dpp v253, v255, v125 quad_perm:[1,1,1,1] row_mask:0xf bank_mask:0xf// 000000005EDC: 0BFAFAFA FF0055FF
	v_mul_f32_dpp v254, v255, v126 quad_perm:[2,2,2,2] row_mask:0xf bank_mask:0xf// 000000005EE4: 0BFCFCFA FF00AAFF
	v_mul_f32_dpp v255, v255, v127 quad_perm:[3,3,3,3] row_mask:0xf bank_mask:0xf// 000000005EEC: 0BFEFEFA FF00FFFF
	v_mov_b32_e32 v48, 0x358637bd                              // 000000005EF4: 7E6002FF 358637BD
	v_max3_f32 v48, |v240|, |v241|, v48                        // 000000005EFC: D1D30330 04C3E3F0
	v_max3_f32 v48, |v242|, |v243|, v48                        // 000000005F04: D1D30330 04C3E7F2
	v_max3_f32 v48, |v244|, |v245|, v48                        // 000000005F0C: D1D30330 04C3EBF4
	v_max3_f32 v48, |v246|, |v247|, v48                        // 000000005F14: D1D30330 04C3EFF6
	v_max3_f32 v48, |v248|, |v249|, v48                        // 000000005F1C: D1D30330 04C3F3F8
	v_max3_f32 v48, |v250|, |v251|, v48                        // 000000005F24: D1D30330 04C3F7FA
	v_max3_f32 v48, |v252|, |v253|, v48                        // 000000005F2C: D1D30330 04C3FBFC
	v_max3_f32 v48, |v254|, |v255|, v48                        // 000000005F34: D1D30330 04C3FFFE
	ds_write_b32 v8, v48 offset:20992                          // 000000005F3C: D81A5200 00003008
	v_sub_f32_e32 v49, v11, v15                                // 000000005F44: 04621F0B
	v_cndmask_b32_e64 v49, v49, 0, s[40:41]                    // 000000005F48: D1000031 00A10131
	v_mov_b32_e32 v11, v15                                     // 000000005F50: 7E16030F
	v_mul_f32_e32 v49, s64, v49                                // 000000005F54: 0A626240
	v_exp_f32_e32 v49, v49                                     // 000000005F58: 7E624131
	s_waitcnt lgkmcnt(0)                                       // 000000005F5C: BF8CC07F
	s_barrier                                                  // 000000005F60: BF8A0000
	ds_read_b32 v64, v7 offset:20992                           // 000000005F64: D86C5200 40000007
	ds_read_b32 v65, v7 offset:21056                           // 000000005F6C: D86C5240 41000007
	ds_read_b32 v66, v7 offset:21120                           // 000000005F74: D86C5280 42000007
	ds_read_b32 v67, v7 offset:21184                           // 000000005F7C: D86C52C0 43000007
	ds_read_b32 v68, v7 offset:21248                           // 000000005F84: D86C5300 44000007
	ds_read_b32 v69, v7 offset:21312                           // 000000005F8C: D86C5340 45000007
	ds_read_b32 v70, v7 offset:21376                           // 000000005F94: D86C5380 46000007
	ds_read_b32 v71, v7 offset:21440                           // 000000005F9C: D86C53C0 47000007
	ds_read_b32 v72, v7 offset:21504                           // 000000005FA4: D86C5400 48000007
	ds_read_b32 v73, v7 offset:21568                           // 000000005FAC: D86C5440 49000007
	ds_read_b32 v74, v7 offset:21632                           // 000000005FB4: D86C5480 4A000007
	ds_read_b32 v75, v7 offset:21696                           // 000000005FBC: D86C54C0 4B000007
	ds_read_b32 v76, v7 offset:21760                           // 000000005FC4: D86C5500 4C000007
	ds_read_b32 v77, v7 offset:21824                           // 000000005FCC: D86C5540 4D000007
	ds_read_b32 v78, v7 offset:21888                           // 000000005FD4: D86C5580 4E000007
	ds_read_b32 v79, v7 offset:21952                           // 000000005FDC: D86C55C0 4F000007
	v_mul_f32_e32 v38, v49, v38                                // 000000005FE4: 0A4C4D31
	v_mov_b32_e32 v15, v112                                    // 000000005FE8: 7E1E0370
	v_add_f32_e32 v15, v113, v15                               // 000000005FEC: 021E1F71
	v_add_f32_e32 v15, v114, v15                               // 000000005FF0: 021E1F72
	v_add_f32_e32 v15, v115, v15                               // 000000005FF4: 021E1F73
	v_add_f32_e32 v15, v116, v15                               // 000000005FF8: 021E1F74
	v_add_f32_e32 v15, v117, v15                               // 000000005FFC: 021E1F75
	v_add_f32_e32 v15, v118, v15                               // 000000006000: 021E1F76
	v_add_f32_e32 v15, v119, v15                               // 000000006004: 021E1F77
	v_add_f32_e32 v15, v120, v15                               // 000000006008: 021E1F78
	v_add_f32_e32 v15, v121, v15                               // 00000000600C: 021E1F79
	v_add_f32_e32 v15, v122, v15                               // 000000006010: 021E1F7A
	v_add_f32_e32 v15, v123, v15                               // 000000006014: 021E1F7B
	v_add_f32_e32 v15, v124, v15                               // 000000006018: 021E1F7C
	v_add_f32_e32 v15, v125, v15                               // 00000000601C: 021E1F7D
	v_add_f32_e32 v15, v126, v15                               // 000000006020: 021E1F7E
	v_add_f32_e32 v15, v127, v15                               // 000000006024: 021E1F7F
	v_add_f32_e32 v38, v15, v38                                // 000000006028: 024C4D0F
	s_waitcnt lgkmcnt(0)                                       // 00000000602C: BF8CC07F
	v_max3_f32 v48, |v64|, |v65|, v48                          // 000000006030: D1D30330 04C28340
	v_max3_f32 v48, |v66|, |v67|, v48                          // 000000006038: D1D30330 04C28742
	v_max3_f32 v48, |v68|, |v69|, v48                          // 000000006040: D1D30330 04C28B44
	v_max3_f32 v48, |v70|, |v71|, v48                          // 000000006048: D1D30330 04C28F46
	v_max3_f32 v48, |v72|, |v73|, v48                          // 000000006050: D1D30330 04C29348
	v_max3_f32 v48, |v74|, |v75|, v48                          // 000000006058: D1D30330 04C2974A
	v_max3_f32 v48, |v76|, |v77|, v48                          // 000000006060: D1D30330 04C29B4C
	v_max3_f32 v48, |v78|, |v79|, v48                          // 000000006068: D1D30330 04C29F4E
	s_nop 2                                                    // 000000006070: BF800002
	v_rcp_f32_e32 v48, v48                                     // 000000006074: 7E604530
	s_nop 1                                                    // 000000006078: BF800001
	v_mul_f32_e32 v48, 0x43700000, v48                         // 00000000607C: 0A6060FF 43700000
	v_mul_f32_e32 v112, v48, v240                              // 000000006084: 0AE1E130
	v_mul_f32_e32 v113, v48, v241                              // 000000006088: 0AE3E330
	v_mul_f32_e32 v114, v48, v242                              // 00000000608C: 0AE5E530
	v_mul_f32_e32 v115, v48, v243                              // 000000006090: 0AE7E730
	v_mul_f32_e32 v116, v48, v244                              // 000000006094: 0AE9E930
	v_mul_f32_e32 v117, v48, v245                              // 000000006098: 0AEBEB30
	v_mul_f32_e32 v118, v48, v246                              // 00000000609C: 0AEDED30
	v_mul_f32_e32 v119, v48, v247                              // 0000000060A0: 0AEFEF30
	v_mul_f32_e32 v120, v48, v248                              // 0000000060A4: 0AF1F130
	v_mul_f32_e32 v121, v48, v249                              // 0000000060A8: 0AF3F330
	v_mul_f32_e32 v122, v48, v250                              // 0000000060AC: 0AF5F530
	v_mul_f32_e32 v123, v48, v251                              // 0000000060B0: 0AF7F730
	v_mul_f32_e32 v124, v48, v252                              // 0000000060B4: 0AF9F930
	v_mul_f32_e32 v125, v48, v253                              // 0000000060B8: 0AFBFB30
	v_mul_f32_e32 v126, v48, v254                              // 0000000060BC: 0AFDFD30
	v_mul_f32_e32 v127, v48, v255                              // 0000000060C0: 0AFFFF30
	v_cvt_pk_fp8_f32 v112, v112, v113                          // 0000000060C4: D2A20070 0002E370
	v_cvt_pk_fp8_f32 v112, v114, v115 op_sel:[0,0,1]           // 0000000060CC: D2A24070 0002E772
	v_cvt_pk_fp8_f32 v113, v116, v117                          // 0000000060D4: D2A20071 0002EB74
	v_cvt_pk_fp8_f32 v113, v118, v119 op_sel:[0,0,1]           // 0000000060DC: D2A24071 0002EF76
	v_cvt_pk_fp8_f32 v114, v120, v121                          // 0000000060E4: D2A20072 0002F378
	v_cvt_pk_fp8_f32 v114, v122, v123 op_sel:[0,0,1]           // 0000000060EC: D2A24072 0002F77A
	v_cvt_pk_fp8_f32 v115, v124, v125                          // 0000000060F4: D2A20073 0002FB7C
	v_cvt_pk_fp8_f32 v115, v126, v127 op_sel:[0,0,1]           // 0000000060FC: D2A24073 0002FF7E
	ds_write_b32 v10, v112 offset:25088                        // 000000006104: D81A6200 0000700A
	ds_write_b32 v10, v113 offset:26112                        // 00000000610C: D81A6600 0000710A
	ds_write_b32 v10, v114 offset:27136                        // 000000006114: D81A6A00 0000720A
	ds_write_b32 v10, v115 offset:28160                        // 00000000611C: D81A6E00 0000730A
	v_add_f32_e32 v208, v208, v176                             // 000000006124: 03A161D0
	v_add_f32_e32 v209, v209, v177                             // 000000006128: 03A363D1
	v_add_f32_e32 v210, v210, v178                             // 00000000612C: 03A565D2
	v_add_f32_e32 v211, v211, v179                             // 000000006130: 03A767D3
	v_add_f32_e32 v212, v212, v180                             // 000000006134: 03A969D4
	v_add_f32_e32 v213, v213, v181                             // 000000006138: 03AB6BD5
	v_add_f32_e32 v214, v214, v182                             // 00000000613C: 03AD6DD6
	v_add_f32_e32 v215, v215, v183                             // 000000006140: 03AF6FD7
	v_rcp_f32_e32 v44, v48                                     // 000000006144: 7E584530
	s_waitcnt lgkmcnt(0)                                       // 000000006148: BF8CC07F
	s_barrier                                                  // 00000000614C: BF8A0000
	ds_read_b64 v[112:113], v9 offset:25088                    // 000000006150: D8EC6200 70000009
	ds_read_b64 v[114:115], v9 offset:25216                    // 000000006158: D8EC6280 72000009
	ds_read_b64 v[116:117], v9 offset:26112                    // 000000006160: D8EC6600 74000009
	ds_read_b64 v[118:119], v9 offset:26240                    // 000000006168: D8EC6680 76000009
	ds_read_b64 v[120:121], v9 offset:27136                    // 000000006170: D8EC6A00 78000009
	ds_read_b64 v[122:123], v9 offset:27264                    // 000000006178: D8EC6A80 7A000009
	ds_read_b64 v[124:125], v9 offset:28160                    // 000000006180: D8EC6E00 7C000009
	ds_read_b64 v[126:127], v9 offset:28288                    // 000000006188: D8EC6E80 7E000009
	s_waitcnt vmcnt(0)                                         // 000000006190: BF8C0F70
	s_barrier                                                  // 000000006194: BF8A0000
	s_waitcnt lgkmcnt(7)                                       // 000000006198: BF8CC77F
	v_mfma_f32_16x16x32_fp8_fp8 v[176:179], a[64:65], v[112:113], 0// 00000000619C: D3F300B0 0A02E140
	s_waitcnt lgkmcnt(6)                                       // 0000000061A4: BF8CC67F
	v_mfma_f32_16x16x32_fp8_fp8 v[176:179], a[66:67], v[114:115], v[176:179]// 0000000061A8: D3F300B0 0EC2E542
	s_waitcnt lgkmcnt(5)                                       // 0000000061B0: BF8CC57F
	v_mfma_f32_16x16x32_fp8_fp8 v[176:179], a[68:69], v[116:117], v[176:179]// 0000000061B4: D3F300B0 0EC2E944
	s_waitcnt lgkmcnt(4)                                       // 0000000061BC: BF8CC47F
	v_mfma_f32_16x16x32_fp8_fp8 v[176:179], a[70:71], v[118:119], v[176:179]// 0000000061C0: D3F300B0 0EC2ED46
	s_waitcnt lgkmcnt(3)                                       // 0000000061C8: BF8CC37F
	v_mfma_f32_16x16x32_fp8_fp8 v[176:179], a[72:73], v[120:121], v[176:179]// 0000000061CC: D3F300B0 0EC2F148
	s_waitcnt lgkmcnt(2)                                       // 0000000061D4: BF8CC27F
	v_mfma_f32_16x16x32_fp8_fp8 v[176:179], a[74:75], v[122:123], v[176:179]// 0000000061D8: D3F300B0 0EC2F54A
	s_waitcnt lgkmcnt(1)                                       // 0000000061E0: BF8CC17F
	v_mfma_f32_16x16x32_fp8_fp8 v[176:179], a[76:77], v[124:125], v[176:179]// 0000000061E4: D3F300B0 0EC2F94C
	s_waitcnt lgkmcnt(0)                                       // 0000000061EC: BF8CC07F
	v_mfma_f32_16x16x32_fp8_fp8 v[176:179], a[78:79], v[126:127], v[176:179]// 0000000061F0: D3F300B0 0EC2FD4E
	v_mfma_f32_16x16x32_fp8_fp8 v[180:183], a[80:81], v[112:113], 0// 0000000061F8: D3F300B4 0A02E150
	v_mfma_f32_16x16x32_fp8_fp8 v[180:183], a[82:83], v[114:115], v[180:183]// 000000006200: D3F300B4 0ED2E552
	v_mfma_f32_16x16x32_fp8_fp8 v[180:183], a[84:85], v[116:117], v[180:183]// 000000006208: D3F300B4 0ED2E954
	v_mfma_f32_16x16x32_fp8_fp8 v[180:183], a[86:87], v[118:119], v[180:183]// 000000006210: D3F300B4 0ED2ED56
	v_mfma_f32_16x16x32_fp8_fp8 v[180:183], a[88:89], v[120:121], v[180:183]// 000000006218: D3F300B4 0ED2F158
	v_mfma_f32_16x16x32_fp8_fp8 v[180:183], a[90:91], v[122:123], v[180:183]// 000000006220: D3F300B4 0ED2F55A
	v_mfma_f32_16x16x32_fp8_fp8 v[180:183], a[92:93], v[124:125], v[180:183]// 000000006228: D3F300B4 0ED2F95C
	v_mfma_f32_16x16x32_fp8_fp8 v[180:183], a[94:95], v[126:127], v[180:183]// 000000006230: D3F300B4 0ED2FD5E
	s_nop 4                                                    // 000000006238: BF800004
	s_branch label_1302                                        // 00000000623C: BF8202F2

0000000000006240 <label_1010>:
	s_waitcnt vmcnt(8) lgkmcnt(0)                              // 000000006240: BF8C0078
	s_barrier                                                  // 000000006244: BF8A0000
	v_mfma_f32_16x16x32_fp8_fp8 v[112:115], a[32:33], v[80:81], 0// 000000006248: D3F30070 0A02A120
	v_mfma_f32_16x16x32_fp8_fp8 v[112:115], a[34:35], v[82:83], v[112:115]// 000000006250: D3F30070 0DC2A522
	v_mfma_f32_16x16x32_fp8_fp8 v[112:115], a[36:37], v[84:85], v[112:115]// 000000006258: D3F30070 0DC2A924
	v_mfma_f32_16x16x32_fp8_fp8 v[112:115], a[38:39], v[86:87], v[112:115]// 000000006260: D3F30070 0DC2AD26
	v_mfma_f32_16x16x32_fp8_fp8 v[116:119], a[40:41], v[80:81], 0// 000000006268: D3F30074 0A02A128
	v_mfma_f32_16x16x32_fp8_fp8 v[116:119], a[42:43], v[82:83], v[116:119]// 000000006270: D3F30074 0DD2A52A
	v_mfma_f32_16x16x32_fp8_fp8 v[116:119], a[44:45], v[84:85], v[116:119]// 000000006278: D3F30074 0DD2A92C
	v_mfma_f32_16x16x32_fp8_fp8 v[116:119], a[46:47], v[86:87], v[116:119]// 000000006280: D3F30074 0DD2AD2E
	v_mfma_f32_16x16x32_fp8_fp8 v[120:123], a[48:49], v[80:81], 0// 000000006288: D3F30078 0A02A130
	v_mfma_f32_16x16x32_fp8_fp8 v[120:123], a[50:51], v[82:83], v[120:123]// 000000006290: D3F30078 0DE2A532
	v_mfma_f32_16x16x32_fp8_fp8 v[120:123], a[52:53], v[84:85], v[120:123]// 000000006298: D3F30078 0DE2A934
	v_mfma_f32_16x16x32_fp8_fp8 v[120:123], a[54:55], v[86:87], v[120:123]// 0000000062A0: D3F30078 0DE2AD36
	v_mfma_f32_16x16x32_fp8_fp8 v[124:127], a[56:57], v[80:81], 0// 0000000062A8: D3F3007C 0A02A138
	v_mfma_f32_16x16x32_fp8_fp8 v[124:127], a[58:59], v[82:83], v[124:127]// 0000000062B0: D3F3007C 0DF2A53A
	v_mfma_f32_16x16x32_fp8_fp8 v[124:127], a[60:61], v[84:85], v[124:127]// 0000000062B8: D3F3007C 0DF2A93C
	v_mfma_f32_16x16x32_fp8_fp8 v[124:127], a[62:63], v[86:87], v[124:127]// 0000000062C0: D3F3007C 0DF2AD3E
	v_mov_b32_dpp v64, v43 row_shr:4 row_mask:0xf bank_mask:0xf// 0000000062C8: 7E8002FA FF01142B
	v_mov_b32_dpp v65, v43 row_shl:4 row_mask:0xf bank_mask:0xf// 0000000062D0: 7E8202FA FF01042B
	v_cndmask_b32_e64 v248, v43, v64, s[44:45]                 // 0000000062D8: D10000F8 00B2812B
	v_cndmask_b32_e64 v249, v65, v43, s[44:45]                 // 0000000062E0: D10000F9 00B25741
	v_mov_b32_dpp v64, v248 row_shr:8 row_mask:0xf bank_mask:0xf// 0000000062E8: 7E8002FA FF0118F8
	v_mov_b32_dpp v65, v248 row_shl:8 row_mask:0xf bank_mask:0xf// 0000000062F0: 7E8202FA FF0108F8
	v_mov_b32_dpp v66, v249 row_shr:8 row_mask:0xf bank_mask:0xf// 0000000062F8: 7E8402FA FF0118F9
	v_mov_b32_dpp v67, v249 row_shl:8 row_mask:0xf bank_mask:0xf// 000000006300: 7E8602FA FF0108F9
	v_mov_b32_e32 v68, v248                                    // 000000006308: 7E8803F8
	v_mov_b32_e32 v69, v249                                    // 00000000630C: 7E8A03F9
	v_cndmask_b32_e64 v248, v68, v64, s[42:43]                 // 000000006310: D10000F8 00AA8144
	v_cndmask_b32_e64 v250, v68, v65, s[78:79]                 // 000000006318: D10000FA 013A8344
	v_cndmask_b32_e64 v249, v69, v66, s[42:43]                 // 000000006320: D10000F9 00AA8545
	v_cndmask_b32_e64 v251, v69, v67, s[78:79]                 // 000000006328: D10000FB 013A8745
	v_mov_b32_dpp v64, v58 row_shr:4 row_mask:0xf bank_mask:0xf// 000000006330: 7E8002FA FF01143A
	v_mov_b32_dpp v65, v58 row_shl:4 row_mask:0xf bank_mask:0xf// 000000006338: 7E8202FA FF01043A
	v_cndmask_b32_e64 v252, v58, v64, s[44:45]                 // 000000006340: D10000FC 00B2813A
	v_cndmask_b32_e64 v253, v65, v58, s[44:45]                 // 000000006348: D10000FD 00B27541
	v_mov_b32_dpp v64, v252 row_shr:8 row_mask:0xf bank_mask:0xf// 000000006350: 7E8002FA FF0118FC
	v_mov_b32_dpp v65, v252 row_shl:8 row_mask:0xf bank_mask:0xf// 000000006358: 7E8202FA FF0108FC
	v_mov_b32_dpp v66, v253 row_shr:8 row_mask:0xf bank_mask:0xf// 000000006360: 7E8402FA FF0118FD
	v_mov_b32_dpp v67, v253 row_shl:8 row_mask:0xf bank_mask:0xf// 000000006368: 7E8602FA FF0108FD
	v_mov_b32_e32 v68, v252                                    // 000000006370: 7E8803FC
	v_mov_b32_e32 v69, v253                                    // 000000006374: 7E8A03FD
	v_cndmask_b32_e64 v252, v68, v64, s[42:43]                 // 000000006378: D10000FC 00AA8144
	v_cndmask_b32_e64 v254, v68, v65, s[78:79]                 // 000000006380: D10000FE 013A8344
	v_cndmask_b32_e64 v253, v69, v66, s[42:43]                 // 000000006388: D10000FD 00AA8545
	v_cndmask_b32_e64 v255, v69, v67, s[78:79]                 // 000000006390: D10000FF 013A8745
	v_mul_f32_e32 v112, v18, v112                              // 000000006398: 0AE0E112
	v_mul_f32_e32 v113, v18, v113                              // 00000000639C: 0AE2E312
	v_mul_f32_e32 v114, v18, v114                              // 0000000063A0: 0AE4E512
	v_mul_f32_e32 v115, v18, v115                              // 0000000063A4: 0AE6E712
	v_mul_f32_e32 v116, v18, v116                              // 0000000063A8: 0AE8E912
	v_mul_f32_e32 v117, v18, v117                              // 0000000063AC: 0AEAEB12
	v_mul_f32_e32 v118, v18, v118                              // 0000000063B0: 0AECED12
	v_mul_f32_e32 v119, v18, v119                              // 0000000063B4: 0AEEEF12
	v_mul_f32_e32 v120, v18, v120                              // 0000000063B8: 0AF0F112
	v_mul_f32_e32 v121, v18, v121                              // 0000000063BC: 0AF2F312
	v_mul_f32_e32 v122, v18, v122                              // 0000000063C0: 0AF4F512
	v_mul_f32_e32 v123, v18, v123                              // 0000000063C4: 0AF6F712
	v_mul_f32_e32 v124, v18, v124                              // 0000000063C8: 0AF8F912
	v_mul_f32_e32 v125, v18, v125                              // 0000000063CC: 0AFAFB12
	v_mul_f32_e32 v126, v18, v126                              // 0000000063D0: 0AFCFD12
	v_mul_f32_e32 v127, v18, v127                              // 0000000063D4: 0AFEFF12
	v_mul_f32_dpp v112, v248, v112 quad_perm:[0,0,0,0] row_mask:0xf bank_mask:0xf// 0000000063D8: 0AE0E0FA FF0000F8
	v_mul_f32_dpp v113, v248, v113 quad_perm:[1,1,1,1] row_mask:0xf bank_mask:0xf// 0000000063E0: 0AE2E2FA FF0055F8
	v_mul_f32_dpp v114, v248, v114 quad_perm:[2,2,2,2] row_mask:0xf bank_mask:0xf// 0000000063E8: 0AE4E4FA FF00AAF8
	v_mul_f32_dpp v115, v248, v115 quad_perm:[3,3,3,3] row_mask:0xf bank_mask:0xf// 0000000063F0: 0AE6E6FA FF00FFF8
	v_mul_f32_dpp v116, v249, v116 quad_perm:[0,0,0,0] row_mask:0xf bank_mask:0xf// 0000000063F8: 0AE8E8FA FF0000F9
	v_mul_f32_dpp v117, v249, v117 quad_perm:[1,1,1,1] row_mask:0xf bank_mask:0xf// 000000006400: 0AEAEAFA FF0055F9
	v_mul_f32_dpp v118, v249, v118 quad_perm:[2,2,2,2] row_mask:0xf bank_mask:0xf// 000000006408: 0AECECFA FF00AAF9
	v_mul_f32_dpp v119, v249, v119 quad_perm:[3,3,3,3] row_mask:0xf bank_mask:0xf// 000000006410: 0AEEEEFA FF00FFF9
	v_mul_f32_dpp v120, v250, v120 quad_perm:[0,0,0,0] row_mask:0xf bank_mask:0xf// 000000006418: 0AF0F0FA FF0000FA
	v_mul_f32_dpp v121, v250, v121 quad_perm:[1,1,1,1] row_mask:0xf bank_mask:0xf// 000000006420: 0AF2F2FA FF0055FA
	v_mul_f32_dpp v122, v250, v122 quad_perm:[2,2,2,2] row_mask:0xf bank_mask:0xf// 000000006428: 0AF4F4FA FF00AAFA
	v_mul_f32_dpp v123, v250, v123 quad_perm:[3,3,3,3] row_mask:0xf bank_mask:0xf// 000000006430: 0AF6F6FA FF00FFFA
	v_mul_f32_dpp v124, v251, v124 quad_perm:[0,0,0,0] row_mask:0xf bank_mask:0xf// 000000006438: 0AF8F8FA FF0000FB
	v_mul_f32_dpp v125, v251, v125 quad_perm:[1,1,1,1] row_mask:0xf bank_mask:0xf// 000000006440: 0AFAFAFA FF0055FB
	v_mul_f32_dpp v126, v251, v126 quad_perm:[2,2,2,2] row_mask:0xf bank_mask:0xf// 000000006448: 0AFCFCFA FF00AAFB
	v_mul_f32_dpp v127, v251, v127 quad_perm:[3,3,3,3] row_mask:0xf bank_mask:0xf// 000000006450: 0AFEFEFA FF00FFFB
	s_cmp_le_i32 s90, s89                                      // 000000006458: BF05595A
	s_cbranch_scc1 label_1109                                  // 00000000645C: BF850071
	v_mov_b32_e32 v66, 0xff800000                              // 000000006460: 7E8402FF FF800000
	s_mov_b32 s60, s90                                         // 000000006468: BEBC005A
	s_add_u32 s61, s89, 0xff                                   // 00000000646C: 803DFF59 000000FF
	v_mov_b32_e32 v64, s61                                     // 000000006474: 7E80023D
	v_lshrrev_b32_e32 v240, 4, v0                              // 000000006478: 21E00084
	v_mul_i32_i24_e32 v240, 4, v240                            // 00000000647C: 0DE1E084
	v_add_u32_e32 v240, s60, v240                              // 000000006480: 69E1E03C
	s_mov_b32 s61, 0                                           // 000000006484: BEBD0080
	s_mul_i32 s60, 16, s7                                      // 000000006488: 923C0790
	v_sub_u32_e64 v240, v240, s61                              // 00000000648C: D13500F0 00007BF0
	v_add_u32_e32 v240, s60, v240                              // 000000006494: 69E1E03C
	v_add_u32_e32 v241, 1, v240                                // 000000006498: 69E3E081
	v_add_u32_e32 v242, 2, v240                                // 00000000649C: 69E5E082
	v_add_u32_e32 v243, 3, v240                                // 0000000064A0: 69E7E083
	v_cmp_le_u32_e64 s[40:41], v240, v64                       // 0000000064A4: D0CB0028 000281F0
	v_add_u32_e32 v240, 64, v240                               // 0000000064AC: 69E1E0C0
	s_nop 0                                                    // 0000000064B0: BF800000
	v_cndmask_b32_e64 v112, v66, v112, s[40:41]                // 0000000064B4: D1000070 00A2E142
	v_cmp_le_u32_e64 s[40:41], v241, v64                       // 0000000064BC: D0CB0028 000281F1
	v_add_u32_e32 v241, 64, v241                               // 0000000064C4: 69E3E2C0
	s_nop 0                                                    // 0000000064C8: BF800000
	v_cndmask_b32_e64 v113, v66, v113, s[40:41]                // 0000000064CC: D1000071 00A2E342
	v_cmp_le_u32_e64 s[40:41], v242, v64                       // 0000000064D4: D0CB0028 000281F2
	v_add_u32_e32 v242, 64, v242                               // 0000000064DC: 69E5E4C0
	s_nop 0                                                    // 0000000064E0: BF800000
	v_cndmask_b32_e64 v114, v66, v114, s[40:41]                // 0000000064E4: D1000072 00A2E542
	v_cmp_le_u32_e64 s[40:41], v243, v64                       // 0000000064EC: D0CB0028 000281F3
	v_add_u32_e32 v243, 64, v243                               // 0000000064F4: 69E7E6C0
	s_nop 0                                                    // 0000000064F8: BF800000
	v_cndmask_b32_e64 v115, v66, v115, s[40:41]                // 0000000064FC: D1000073 00A2E742
	v_cmp_le_u32_e64 s[40:41], v240, v64                       // 000000006504: D0CB0028 000281F0
	v_add_u32_e32 v240, 64, v240                               // 00000000650C: 69E1E0C0
	s_nop 0                                                    // 000000006510: BF800000
	v_cndmask_b32_e64 v116, v66, v116, s[40:41]                // 000000006514: D1000074 00A2E942
	v_cmp_le_u32_e64 s[40:41], v241, v64                       // 00000000651C: D0CB0028 000281F1
	v_add_u32_e32 v241, 64, v241                               // 000000006524: 69E3E2C0
	s_nop 0                                                    // 000000006528: BF800000
	v_cndmask_b32_e64 v117, v66, v117, s[40:41]                // 00000000652C: D1000075 00A2EB42
	v_cmp_le_u32_e64 s[40:41], v242, v64                       // 000000006534: D0CB0028 000281F2
	v_add_u32_e32 v242, 64, v242                               // 00000000653C: 69E5E4C0
	s_nop 0                                                    // 000000006540: BF800000
	v_cndmask_b32_e64 v118, v66, v118, s[40:41]                // 000000006544: D1000076 00A2ED42
	v_cmp_le_u32_e64 s[40:41], v243, v64                       // 00000000654C: D0CB0028 000281F3
	v_add_u32_e32 v243, 64, v243                               // 000000006554: 69E7E6C0
	s_nop 0                                                    // 000000006558: BF800000
	v_cndmask_b32_e64 v119, v66, v119, s[40:41]                // 00000000655C: D1000077 00A2EF42
	v_cmp_le_u32_e64 s[40:41], v240, v64                       // 000000006564: D0CB0028 000281F0
	v_add_u32_e32 v240, 64, v240                               // 00000000656C: 69E1E0C0
	s_nop 0                                                    // 000000006570: BF800000
	v_cndmask_b32_e64 v120, v66, v120, s[40:41]                // 000000006574: D1000078 00A2F142
	v_cmp_le_u32_e64 s[40:41], v241, v64                       // 00000000657C: D0CB0028 000281F1
	v_add_u32_e32 v241, 64, v241                               // 000000006584: 69E3E2C0
	s_nop 0                                                    // 000000006588: BF800000
	v_cndmask_b32_e64 v121, v66, v121, s[40:41]                // 00000000658C: D1000079 00A2F342
	v_cmp_le_u32_e64 s[40:41], v242, v64                       // 000000006594: D0CB0028 000281F2
	v_add_u32_e32 v242, 64, v242                               // 00000000659C: 69E5E4C0
	s_nop 0                                                    // 0000000065A0: BF800000
	v_cndmask_b32_e64 v122, v66, v122, s[40:41]                // 0000000065A4: D100007A 00A2F542
	v_cmp_le_u32_e64 s[40:41], v243, v64                       // 0000000065AC: D0CB0028 000281F3
	v_add_u32_e32 v243, 64, v243                               // 0000000065B4: 69E7E6C0
	s_nop 0                                                    // 0000000065B8: BF800000
	v_cndmask_b32_e64 v123, v66, v123, s[40:41]                // 0000000065BC: D100007B 00A2F742
	v_cmp_le_u32_e64 s[40:41], v240, v64                       // 0000000065C4: D0CB0028 000281F0
	v_add_u32_e32 v240, 64, v240                               // 0000000065CC: 69E1E0C0
	s_nop 0                                                    // 0000000065D0: BF800000
	v_cndmask_b32_e64 v124, v66, v124, s[40:41]                // 0000000065D4: D100007C 00A2F942
	v_cmp_le_u32_e64 s[40:41], v241, v64                       // 0000000065DC: D0CB0028 000281F1
	v_add_u32_e32 v241, 64, v241                               // 0000000065E4: 69E3E2C0
	s_nop 0                                                    // 0000000065E8: BF800000
	v_cndmask_b32_e64 v125, v66, v125, s[40:41]                // 0000000065EC: D100007D 00A2FB42
	v_cmp_le_u32_e64 s[40:41], v242, v64                       // 0000000065F4: D0CB0028 000281F2
	v_add_u32_e32 v242, 64, v242                               // 0000000065FC: 69E5E4C0
	s_nop 0                                                    // 000000006600: BF800000
	v_cndmask_b32_e64 v126, v66, v126, s[40:41]                // 000000006604: D100007E 00A2FD42
	v_cmp_le_u32_e64 s[40:41], v243, v64                       // 00000000660C: D0CB0028 000281F3
	v_add_u32_e32 v243, 64, v243                               // 000000006614: 69E7E6C0
	s_nop 0                                                    // 000000006618: BF800000
	v_cndmask_b32_e64 v127, v66, v127, s[40:41]                // 00000000661C: D100007F 00A2FF42

0000000000006624 <label_1109>:
	s_add_u32 s90, s91, s90                                    // 000000006624: 805A5A5B
	s_and_b32 s60, s72, 0xff                                   // 000000006628: 863CFF48 000000FF
	v_mov_b32_e32 v65, s60                                     // 000000006630: 7E82023C
	v_lshrrev_b32_e32 v240, 4, v0                              // 000000006634: 21E00084
	v_mul_i32_i24_e32 v240, 4, v240                            // 000000006638: 0DE1E084
	s_mul_i32 s60, s7, 16                                      // 00000000663C: 923C9007
	v_add_u32_e32 v240, s60, v240                              // 000000006640: 69E1E03C
	v_add_u32_e32 v241, 1, v240                                // 000000006644: 69E3E081
	v_add_u32_e32 v242, 2, v240                                // 000000006648: 69E5E082
	v_add_u32_e32 v243, 3, v240                                // 00000000664C: 69E7E083
	v_mov_b32_e32 v64, 0xff800000                              // 000000006650: 7E8002FF FF800000
	v_cmp_lt_u32_e64 s[40:41], v240, v65                       // 000000006658: D0C90028 000283F0
	v_add_u32_e32 v240, 64, v240                               // 000000006660: 69E1E0C0
	s_nop 0                                                    // 000000006664: BF800000
	v_cndmask_b32_e64 v112, v64, v112, s[40:41]                // 000000006668: D1000070 00A2E140
	v_cmp_lt_u32_e64 s[40:41], v241, v65                       // 000000006670: D0C90028 000283F1
	v_add_u32_e32 v241, 64, v241                               // 000000006678: 69E3E2C0
	s_nop 0                                                    // 00000000667C: BF800000
	v_cndmask_b32_e64 v113, v64, v113, s[40:41]                // 000000006680: D1000071 00A2E340
	v_cmp_lt_u32_e64 s[40:41], v242, v65                       // 000000006688: D0C90028 000283F2
	v_add_u32_e32 v242, 64, v242                               // 000000006690: 69E5E4C0
	s_nop 0                                                    // 000000006694: BF800000
	v_cndmask_b32_e64 v114, v64, v114, s[40:41]                // 000000006698: D1000072 00A2E540
	v_cmp_lt_u32_e64 s[40:41], v243, v65                       // 0000000066A0: D0C90028 000283F3
	v_add_u32_e32 v243, 64, v243                               // 0000000066A8: 69E7E6C0
	s_nop 0                                                    // 0000000066AC: BF800000
	v_cndmask_b32_e64 v115, v64, v115, s[40:41]                // 0000000066B0: D1000073 00A2E740
	v_cmp_lt_u32_e64 s[40:41], v240, v65                       // 0000000066B8: D0C90028 000283F0
	v_add_u32_e32 v240, 64, v240                               // 0000000066C0: 69E1E0C0
	s_nop 0                                                    // 0000000066C4: BF800000
	v_cndmask_b32_e64 v116, v64, v116, s[40:41]                // 0000000066C8: D1000074 00A2E940
	v_cmp_lt_u32_e64 s[40:41], v241, v65                       // 0000000066D0: D0C90028 000283F1
	v_add_u32_e32 v241, 64, v241                               // 0000000066D8: 69E3E2C0
	s_nop 0                                                    // 0000000066DC: BF800000
	v_cndmask_b32_e64 v117, v64, v117, s[40:41]                // 0000000066E0: D1000075 00A2EB40
	v_cmp_lt_u32_e64 s[40:41], v242, v65                       // 0000000066E8: D0C90028 000283F2
	v_add_u32_e32 v242, 64, v242                               // 0000000066F0: 69E5E4C0
	s_nop 0                                                    // 0000000066F4: BF800000
	v_cndmask_b32_e64 v118, v64, v118, s[40:41]                // 0000000066F8: D1000076 00A2ED40
	v_cmp_lt_u32_e64 s[40:41], v243, v65                       // 000000006700: D0C90028 000283F3
	v_add_u32_e32 v243, 64, v243                               // 000000006708: 69E7E6C0
	s_nop 0                                                    // 00000000670C: BF800000
	v_cndmask_b32_e64 v119, v64, v119, s[40:41]                // 000000006710: D1000077 00A2EF40
	v_cmp_lt_u32_e64 s[40:41], v240, v65                       // 000000006718: D0C90028 000283F0
	v_add_u32_e32 v240, 64, v240                               // 000000006720: 69E1E0C0
	s_nop 0                                                    // 000000006724: BF800000
	v_cndmask_b32_e64 v120, v64, v120, s[40:41]                // 000000006728: D1000078 00A2F140
	v_cmp_lt_u32_e64 s[40:41], v241, v65                       // 000000006730: D0C90028 000283F1
	v_add_u32_e32 v241, 64, v241                               // 000000006738: 69E3E2C0
	s_nop 0                                                    // 00000000673C: BF800000
	v_cndmask_b32_e64 v121, v64, v121, s[40:41]                // 000000006740: D1000079 00A2F340
	v_cmp_lt_u32_e64 s[40:41], v242, v65                       // 000000006748: D0C90028 000283F2
	v_add_u32_e32 v242, 64, v242                               // 000000006750: 69E5E4C0
	s_nop 0                                                    // 000000006754: BF800000
	v_cndmask_b32_e64 v122, v64, v122, s[40:41]                // 000000006758: D100007A 00A2F540
	v_cmp_lt_u32_e64 s[40:41], v243, v65                       // 000000006760: D0C90028 000283F3
	v_add_u32_e32 v243, 64, v243                               // 000000006768: 69E7E6C0
	s_nop 0                                                    // 00000000676C: BF800000
	v_cndmask_b32_e64 v123, v64, v123, s[40:41]                // 000000006770: D100007B 00A2F740
	v_cmp_lt_u32_e64 s[40:41], v240, v65                       // 000000006778: D0C90028 000283F0
	v_add_u32_e32 v240, 64, v240                               // 000000006780: 69E1E0C0
	s_nop 0                                                    // 000000006784: BF800000
	v_cndmask_b32_e64 v124, v64, v124, s[40:41]                // 000000006788: D100007C 00A2F940
	v_cmp_lt_u32_e64 s[40:41], v241, v65                       // 000000006790: D0C90028 000283F1
	v_add_u32_e32 v241, 64, v241                               // 000000006798: 69E3E2C0
	s_nop 0                                                    // 00000000679C: BF800000
	v_cndmask_b32_e64 v125, v64, v125, s[40:41]                // 0000000067A0: D100007D 00A2FB40
	v_cmp_lt_u32_e64 s[40:41], v242, v65                       // 0000000067A8: D0C90028 000283F2
	v_add_u32_e32 v242, 64, v242                               // 0000000067B0: 69E5E4C0
	s_nop 0                                                    // 0000000067B4: BF800000
	v_cndmask_b32_e64 v126, v64, v126, s[40:41]                // 0000000067B8: D100007E 00A2FD40
	v_cmp_lt_u32_e64 s[40:41], v243, v65                       // 0000000067C0: D0C90028 000283F3
	v_add_u32_e32 v243, 64, v243                               // 0000000067C8: 69E7E6C0
	s_nop 0                                                    // 0000000067CC: BF800000
	v_cndmask_b32_e64 v127, v64, v127, s[40:41]                // 0000000067D0: D100007F 00A2FF40
	v_mov_b32_e32 v48, v112                                    // 0000000067D8: 7E600370
	v_max3_f32 v48, v112, v113, v48                            // 0000000067DC: D1D30030 04C2E370
	v_max3_f32 v48, v114, v115, v48                            // 0000000067E4: D1D30030 04C2E772
	v_max3_f32 v48, v116, v117, v48                            // 0000000067EC: D1D30030 04C2EB74
	v_max3_f32 v48, v118, v119, v48                            // 0000000067F4: D1D30030 04C2EF76
	v_max3_f32 v48, v120, v121, v48                            // 0000000067FC: D1D30030 04C2F378
	v_max3_f32 v48, v122, v123, v48                            // 000000006804: D1D30030 04C2F77A
	v_max3_f32 v48, v124, v125, v48                            // 00000000680C: D1D30030 04C2FB7C
	v_max3_f32 v48, v126, v127, v48                            // 000000006814: D1D30030 04C2FF7E
	ds_write_b32 v8, v48 offset:16896                          // 00000000681C: D81A4200 00003008
	v_mul_u32_u24_dpp v64, v16, v54 row_newbcast:1 row_mask:0xf bank_mask:0xf// 000000006824: 10806CFA FF015110
	v_mul_u32_u24_dpp v65, v16, v54 row_newbcast:5 row_mask:0xf bank_mask:0xf// 00000000682C: 10826CFA FF015510
	v_mul_u32_u24_dpp v66, v16, v54 row_newbcast:9 row_mask:0xf bank_mask:0xf// 000000006834: 10846CFA FF015910
	v_mul_u32_u24_dpp v67, v16, v54 row_newbcast:13 row_mask:0xf bank_mask:0xf// 00000000683C: 10866CFA FF015D10
	v_add_u32_e32 v30, v64, v6                                 // 000000006844: 683C0D40
	v_add_u32_e32 v31, v65, v6                                 // 000000006848: 683E0D41
	v_add_u32_e32 v32, v66, v6                                 // 00000000684C: 68400D42
	v_add_u32_e32 v33, v67, v6                                 // 000000006850: 68420D43
	v_mul_f32_e32 v208, v49, v208                              // 000000006854: 0BA1A131
	v_mul_f32_e32 v209, v49, v209                              // 000000006858: 0BA3A331
	v_mul_f32_e32 v210, v49, v210                              // 00000000685C: 0BA5A531
	v_mul_f32_e32 v211, v49, v211                              // 000000006860: 0BA7A731
	v_mul_f32_e32 v212, v49, v212                              // 000000006864: 0BA9A931
	v_mul_f32_e32 v213, v49, v213                              // 000000006868: 0BABAB31
	v_mul_f32_e32 v214, v49, v214                              // 00000000686C: 0BADAD31
	v_mul_f32_e32 v215, v49, v215                              // 000000006870: 0BAFAF31
	s_waitcnt lgkmcnt(0)                                       // 000000006874: BF8CC07F
	s_barrier                                                  // 000000006878: BF8A0000
	ds_read_b32 v64, v7 offset:16896                           // 00000000687C: D86C4200 40000007
	ds_read_b32 v65, v7 offset:16960                           // 000000006884: D86C4240 41000007
	ds_read_b32 v66, v7 offset:17024                           // 00000000688C: D86C4280 42000007
	ds_read_b32 v67, v7 offset:17088                           // 000000006894: D86C42C0 43000007
	ds_read_b32 v68, v7 offset:17152                           // 00000000689C: D86C4300 44000007
	ds_read_b32 v69, v7 offset:17216                           // 0000000068A4: D86C4340 45000007
	ds_read_b32 v70, v7 offset:17280                           // 0000000068AC: D86C4380 46000007
	ds_read_b32 v71, v7 offset:17344                           // 0000000068B4: D86C43C0 47000007
	ds_read_b32 v72, v7 offset:17408                           // 0000000068BC: D86C4400 48000007
	ds_read_b32 v73, v7 offset:17472                           // 0000000068C4: D86C4440 49000007
	ds_read_b32 v74, v7 offset:17536                           // 0000000068CC: D86C4480 4A000007
	ds_read_b32 v75, v7 offset:17600                           // 0000000068D4: D86C44C0 4B000007
	ds_read_b32 v76, v7 offset:17664                           // 0000000068DC: D86C4500 4C000007
	ds_read_b32 v77, v7 offset:17728                           // 0000000068E4: D86C4540 4D000007
	ds_read_b32 v78, v7 offset:17792                           // 0000000068EC: D86C4580 4E000007
	ds_read_b32 v79, v7 offset:17856                           // 0000000068F4: D86C45C0 4F000007
	v_mul_f32_e32 v176, v44, v176                              // 0000000068FC: 0B61612C
	v_mul_f32_e32 v177, v44, v177                              // 000000006900: 0B63632C
	v_mul_f32_e32 v178, v44, v178                              // 000000006904: 0B65652C
	v_mul_f32_e32 v179, v44, v179                              // 000000006908: 0B67672C
	v_mul_f32_e32 v180, v44, v180                              // 00000000690C: 0B69692C
	v_mul_f32_e32 v181, v44, v181                              // 000000006910: 0B6B6B2C
	v_mul_f32_e32 v182, v44, v182                              // 000000006914: 0B6D6D2C
	v_mul_f32_e32 v183, v44, v183                              // 000000006918: 0B6F6F2C
	s_waitcnt lgkmcnt(0)                                       // 00000000691C: BF8CC07F
	v_max3_f32 v48, v64, v65, v48                              // 000000006920: D1D30030 04C28340
	v_max3_f32 v48, v66, v67, v48                              // 000000006928: D1D30030 04C28742
	v_max3_f32 v48, v68, v69, v48                              // 000000006930: D1D30030 04C28B44
	v_max3_f32 v48, v70, v71, v48                              // 000000006938: D1D30030 04C28F46
	v_max3_f32 v48, v72, v73, v48                              // 000000006940: D1D30030 04C29348
	v_max3_f32 v48, v74, v75, v48                              // 000000006948: D1D30030 04C2974A
	v_max3_f32 v48, v76, v77, v48                              // 000000006950: D1D30030 04C29B4C
	v_max3_f32 v48, v78, v79, v48                              // 000000006958: D1D30030 04C29F4E
	v_mov_b32_e32 v64, 0xff800000                              // 000000006960: 7E8002FF FF800000
	v_cmp_eq_u32_e64 s[40:41], v64, v11                        // 000000006968: D0CA0028 00021740
	s_nop 1                                                    // 000000006970: BF800001
	v_max_f32_e32 v15, v48, v11                                // 000000006974: 161E1730
	v_mul_f32_e32 v53, s64, v15                                // 000000006978: 0A6A1E40
	v_fma_f32 v112, v112, s64, -v53                            // 00000000697C: D1CB0070 84D48170
	v_fma_f32 v113, v113, s64, -v53                            // 000000006984: D1CB0071 84D48171
	v_fma_f32 v114, v114, s64, -v53                            // 00000000698C: D1CB0072 84D48172
	v_fma_f32 v115, v115, s64, -v53                            // 000000006994: D1CB0073 84D48173
	v_fma_f32 v116, v116, s64, -v53                            // 00000000699C: D1CB0074 84D48174
	v_fma_f32 v117, v117, s64, -v53                            // 0000000069A4: D1CB0075 84D48175
	v_fma_f32 v118, v118, s64, -v53                            // 0000000069AC: D1CB0076 84D48176
	v_fma_f32 v119, v119, s64, -v53                            // 0000000069B4: D1CB0077 84D48177
	v_fma_f32 v120, v120, s64, -v53                            // 0000000069BC: D1CB0078 84D48178
	v_fma_f32 v121, v121, s64, -v53                            // 0000000069C4: D1CB0079 84D48179
	v_fma_f32 v122, v122, s64, -v53                            // 0000000069CC: D1CB007A 84D4817A
	v_fma_f32 v123, v123, s64, -v53                            // 0000000069D4: D1CB007B 84D4817B
	v_fma_f32 v124, v124, s64, -v53                            // 0000000069DC: D1CB007C 84D4817C
	v_fma_f32 v125, v125, s64, -v53                            // 0000000069E4: D1CB007D 84D4817D
	v_fma_f32 v126, v126, s64, -v53                            // 0000000069EC: D1CB007E 84D4817E
	v_fma_f32 v127, v127, s64, -v53                            // 0000000069F4: D1CB007F 84D4817F
	v_exp_f32_e32 v112, v112                                   // 0000000069FC: 7EE04170
	v_exp_f32_e32 v113, v113                                   // 000000006A00: 7EE24171
	v_exp_f32_e32 v114, v114                                   // 000000006A04: 7EE44172
	v_exp_f32_e32 v115, v115                                   // 000000006A08: 7EE64173
	v_exp_f32_e32 v116, v116                                   // 000000006A0C: 7EE84174
	v_exp_f32_e32 v117, v117                                   // 000000006A10: 7EEA4175
	v_exp_f32_e32 v118, v118                                   // 000000006A14: 7EEC4176
	v_exp_f32_e32 v119, v119                                   // 000000006A18: 7EEE4177
	v_exp_f32_e32 v120, v120                                   // 000000006A1C: 7EF04178
	v_exp_f32_e32 v121, v121                                   // 000000006A20: 7EF24179
	v_exp_f32_e32 v122, v122                                   // 000000006A24: 7EF4417A
	v_exp_f32_e32 v123, v123                                   // 000000006A28: 7EF6417B
	v_exp_f32_e32 v124, v124                                   // 000000006A2C: 7EF8417C
	v_exp_f32_e32 v125, v125                                   // 000000006A30: 7EFA417D
	v_exp_f32_e32 v126, v126                                   // 000000006A34: 7EFC417E
	v_exp_f32_e32 v127, v127                                   // 000000006A38: 7EFE417F
	v_mul_f32_dpp v240, v252, v112 quad_perm:[0,0,0,0] row_mask:0xf bank_mask:0xf// 000000006A3C: 0BE0E0FA FF0000FC
	v_mul_f32_dpp v241, v252, v113 quad_perm:[1,1,1,1] row_mask:0xf bank_mask:0xf// 000000006A44: 0BE2E2FA FF0055FC
	v_mul_f32_dpp v242, v252, v114 quad_perm:[2,2,2,2] row_mask:0xf bank_mask:0xf// 000000006A4C: 0BE4E4FA FF00AAFC
	v_mul_f32_dpp v243, v252, v115 quad_perm:[3,3,3,3] row_mask:0xf bank_mask:0xf// 000000006A54: 0BE6E6FA FF00FFFC
	v_mul_f32_dpp v244, v253, v116 quad_perm:[0,0,0,0] row_mask:0xf bank_mask:0xf// 000000006A5C: 0BE8E8FA FF0000FD
	v_mul_f32_dpp v245, v253, v117 quad_perm:[1,1,1,1] row_mask:0xf bank_mask:0xf// 000000006A64: 0BEAEAFA FF0055FD
	v_mul_f32_dpp v246, v253, v118 quad_perm:[2,2,2,2] row_mask:0xf bank_mask:0xf// 000000006A6C: 0BECECFA FF00AAFD
	v_mul_f32_dpp v247, v253, v119 quad_perm:[3,3,3,3] row_mask:0xf bank_mask:0xf// 000000006A74: 0BEEEEFA FF00FFFD
	v_mul_f32_dpp v248, v254, v120 quad_perm:[0,0,0,0] row_mask:0xf bank_mask:0xf// 000000006A7C: 0BF0F0FA FF0000FE
	v_mul_f32_dpp v249, v254, v121 quad_perm:[1,1,1,1] row_mask:0xf bank_mask:0xf// 000000006A84: 0BF2F2FA FF0055FE
	v_mul_f32_dpp v250, v254, v122 quad_perm:[2,2,2,2] row_mask:0xf bank_mask:0xf// 000000006A8C: 0BF4F4FA FF00AAFE
	v_mul_f32_dpp v251, v254, v123 quad_perm:[3,3,3,3] row_mask:0xf bank_mask:0xf// 000000006A94: 0BF6F6FA FF00FFFE
	v_mul_f32_dpp v252, v255, v124 quad_perm:[0,0,0,0] row_mask:0xf bank_mask:0xf// 000000006A9C: 0BF8F8FA FF0000FF
	v_mul_f32_dpp v253, v255, v125 quad_perm:[1,1,1,1] row_mask:0xf bank_mask:0xf// 000000006AA4: 0BFAFAFA FF0055FF
	v_mul_f32_dpp v254, v255, v126 quad_perm:[2,2,2,2] row_mask:0xf bank_mask:0xf// 000000006AAC: 0BFCFCFA FF00AAFF
	v_mul_f32_dpp v255, v255, v127 quad_perm:[3,3,3,3] row_mask:0xf bank_mask:0xf// 000000006AB4: 0BFEFEFA FF00FFFF
	v_mov_b32_e32 v48, 0x358637bd                              // 000000006ABC: 7E6002FF 358637BD
	v_max3_f32 v48, |v240|, |v241|, v48                        // 000000006AC4: D1D30330 04C3E3F0
	v_max3_f32 v48, |v242|, |v243|, v48                        // 000000006ACC: D1D30330 04C3E7F2
	v_max3_f32 v48, |v244|, |v245|, v48                        // 000000006AD4: D1D30330 04C3EBF4
	v_max3_f32 v48, |v246|, |v247|, v48                        // 000000006ADC: D1D30330 04C3EFF6
	v_max3_f32 v48, |v248|, |v249|, v48                        // 000000006AE4: D1D30330 04C3F3F8
	v_max3_f32 v48, |v250|, |v251|, v48                        // 000000006AEC: D1D30330 04C3F7FA
	v_max3_f32 v48, |v252|, |v253|, v48                        // 000000006AF4: D1D30330 04C3FBFC
	v_max3_f32 v48, |v254|, |v255|, v48                        // 000000006AFC: D1D30330 04C3FFFE
	ds_write_b32 v8, v48 offset:20992                          // 000000006B04: D81A5200 00003008
	v_sub_f32_e32 v49, v11, v15                                // 000000006B0C: 04621F0B
	v_cndmask_b32_e64 v49, v49, 0, s[40:41]                    // 000000006B10: D1000031 00A10131
	v_mov_b32_e32 v11, v15                                     // 000000006B18: 7E16030F
	v_mul_f32_e32 v49, s64, v49                                // 000000006B1C: 0A626240
	v_exp_f32_e32 v49, v49                                     // 000000006B20: 7E624131
	s_waitcnt lgkmcnt(0)                                       // 000000006B24: BF8CC07F
	s_barrier                                                  // 000000006B28: BF8A0000
	ds_read_b32 v64, v7 offset:20992                           // 000000006B2C: D86C5200 40000007
	ds_read_b32 v65, v7 offset:21056                           // 000000006B34: D86C5240 41000007
	ds_read_b32 v66, v7 offset:21120                           // 000000006B3C: D86C5280 42000007
	ds_read_b32 v67, v7 offset:21184                           // 000000006B44: D86C52C0 43000007
	ds_read_b32 v68, v7 offset:21248                           // 000000006B4C: D86C5300 44000007
	ds_read_b32 v69, v7 offset:21312                           // 000000006B54: D86C5340 45000007
	ds_read_b32 v70, v7 offset:21376                           // 000000006B5C: D86C5380 46000007
	ds_read_b32 v71, v7 offset:21440                           // 000000006B64: D86C53C0 47000007
	ds_read_b32 v72, v7 offset:21504                           // 000000006B6C: D86C5400 48000007
	ds_read_b32 v73, v7 offset:21568                           // 000000006B74: D86C5440 49000007
	ds_read_b32 v74, v7 offset:21632                           // 000000006B7C: D86C5480 4A000007
	ds_read_b32 v75, v7 offset:21696                           // 000000006B84: D86C54C0 4B000007
	ds_read_b32 v76, v7 offset:21760                           // 000000006B8C: D86C5500 4C000007
	ds_read_b32 v77, v7 offset:21824                           // 000000006B94: D86C5540 4D000007
	ds_read_b32 v78, v7 offset:21888                           // 000000006B9C: D86C5580 4E000007
	ds_read_b32 v79, v7 offset:21952                           // 000000006BA4: D86C55C0 4F000007
	v_mul_f32_e32 v38, v49, v38                                // 000000006BAC: 0A4C4D31
	v_mov_b32_e32 v15, v112                                    // 000000006BB0: 7E1E0370
	v_add_f32_e32 v15, v113, v15                               // 000000006BB4: 021E1F71
	v_add_f32_e32 v15, v114, v15                               // 000000006BB8: 021E1F72
	v_add_f32_e32 v15, v115, v15                               // 000000006BBC: 021E1F73
	v_add_f32_e32 v15, v116, v15                               // 000000006BC0: 021E1F74
	v_add_f32_e32 v15, v117, v15                               // 000000006BC4: 021E1F75
	v_add_f32_e32 v15, v118, v15                               // 000000006BC8: 021E1F76
	v_add_f32_e32 v15, v119, v15                               // 000000006BCC: 021E1F77
	v_add_f32_e32 v15, v120, v15                               // 000000006BD0: 021E1F78
	v_add_f32_e32 v15, v121, v15                               // 000000006BD4: 021E1F79
	v_add_f32_e32 v15, v122, v15                               // 000000006BD8: 021E1F7A
	v_add_f32_e32 v15, v123, v15                               // 000000006BDC: 021E1F7B
	v_add_f32_e32 v15, v124, v15                               // 000000006BE0: 021E1F7C
	v_add_f32_e32 v15, v125, v15                               // 000000006BE4: 021E1F7D
	v_add_f32_e32 v15, v126, v15                               // 000000006BE8: 021E1F7E
	v_add_f32_e32 v15, v127, v15                               // 000000006BEC: 021E1F7F
	v_add_f32_e32 v38, v15, v38                                // 000000006BF0: 024C4D0F
	s_waitcnt lgkmcnt(0)                                       // 000000006BF4: BF8CC07F
	v_max3_f32 v48, |v64|, |v65|, v48                          // 000000006BF8: D1D30330 04C28340
	v_max3_f32 v48, |v66|, |v67|, v48                          // 000000006C00: D1D30330 04C28742
	v_max3_f32 v48, |v68|, |v69|, v48                          // 000000006C08: D1D30330 04C28B44
	v_max3_f32 v48, |v70|, |v71|, v48                          // 000000006C10: D1D30330 04C28F46
	v_max3_f32 v48, |v72|, |v73|, v48                          // 000000006C18: D1D30330 04C29348
	v_max3_f32 v48, |v74|, |v75|, v48                          // 000000006C20: D1D30330 04C2974A
	v_max3_f32 v48, |v76|, |v77|, v48                          // 000000006C28: D1D30330 04C29B4C
	v_max3_f32 v48, |v78|, |v79|, v48                          // 000000006C30: D1D30330 04C29F4E
	s_nop 2                                                    // 000000006C38: BF800002
	v_rcp_f32_e32 v48, v48                                     // 000000006C3C: 7E604530
	s_nop 1                                                    // 000000006C40: BF800001
	v_mul_f32_e32 v48, 0x43700000, v48                         // 000000006C44: 0A6060FF 43700000
	v_mul_f32_e32 v112, v48, v240                              // 000000006C4C: 0AE1E130
	v_mul_f32_e32 v113, v48, v241                              // 000000006C50: 0AE3E330
	v_mul_f32_e32 v114, v48, v242                              // 000000006C54: 0AE5E530
	v_mul_f32_e32 v115, v48, v243                              // 000000006C58: 0AE7E730
	v_mul_f32_e32 v116, v48, v244                              // 000000006C5C: 0AE9E930
	v_mul_f32_e32 v117, v48, v245                              // 000000006C60: 0AEBEB30
	v_mul_f32_e32 v118, v48, v246                              // 000000006C64: 0AEDED30
	v_mul_f32_e32 v119, v48, v247                              // 000000006C68: 0AEFEF30
	v_mul_f32_e32 v120, v48, v248                              // 000000006C6C: 0AF1F130
	v_mul_f32_e32 v121, v48, v249                              // 000000006C70: 0AF3F330
	v_mul_f32_e32 v122, v48, v250                              // 000000006C74: 0AF5F530
	v_mul_f32_e32 v123, v48, v251                              // 000000006C78: 0AF7F730
	v_mul_f32_e32 v124, v48, v252                              // 000000006C7C: 0AF9F930
	v_mul_f32_e32 v125, v48, v253                              // 000000006C80: 0AFBFB30
	v_mul_f32_e32 v126, v48, v254                              // 000000006C84: 0AFDFD30
	v_mul_f32_e32 v127, v48, v255                              // 000000006C88: 0AFFFF30
	v_cvt_pk_fp8_f32 v112, v112, v113                          // 000000006C8C: D2A20070 0002E370
	v_cvt_pk_fp8_f32 v112, v114, v115 op_sel:[0,0,1]           // 000000006C94: D2A24070 0002E772
	v_cvt_pk_fp8_f32 v113, v116, v117                          // 000000006C9C: D2A20071 0002EB74
	v_cvt_pk_fp8_f32 v113, v118, v119 op_sel:[0,0,1]           // 000000006CA4: D2A24071 0002EF76
	v_cvt_pk_fp8_f32 v114, v120, v121                          // 000000006CAC: D2A20072 0002F378
	v_cvt_pk_fp8_f32 v114, v122, v123 op_sel:[0,0,1]           // 000000006CB4: D2A24072 0002F77A
	v_cvt_pk_fp8_f32 v115, v124, v125                          // 000000006CBC: D2A20073 0002FB7C
	v_cvt_pk_fp8_f32 v115, v126, v127 op_sel:[0,0,1]           // 000000006CC4: D2A24073 0002FF7E
	ds_write_b32 v10, v112 offset:25088                        // 000000006CCC: D81A6200 0000700A
	ds_write_b32 v10, v113 offset:26112                        // 000000006CD4: D81A6600 0000710A
	ds_write_b32 v10, v114 offset:27136                        // 000000006CDC: D81A6A00 0000720A
	ds_write_b32 v10, v115 offset:28160                        // 000000006CE4: D81A6E00 0000730A
	v_add_f32_e32 v208, v208, v176                             // 000000006CEC: 03A161D0
	v_add_f32_e32 v209, v209, v177                             // 000000006CF0: 03A363D1
	v_add_f32_e32 v210, v210, v178                             // 000000006CF4: 03A565D2
	v_add_f32_e32 v211, v211, v179                             // 000000006CF8: 03A767D3
	v_add_f32_e32 v212, v212, v180                             // 000000006CFC: 03A969D4
	v_add_f32_e32 v213, v213, v181                             // 000000006D00: 03AB6BD5
	v_add_f32_e32 v214, v214, v182                             // 000000006D04: 03AD6DD6
	v_add_f32_e32 v215, v215, v183                             // 000000006D08: 03AF6FD7
	v_rcp_f32_e32 v44, v48                                     // 000000006D0C: 7E584530
	s_waitcnt lgkmcnt(0)                                       // 000000006D10: BF8CC07F
	s_barrier                                                  // 000000006D14: BF8A0000
	ds_read_b64 v[112:113], v9 offset:25088                    // 000000006D18: D8EC6200 70000009
	ds_read_b64 v[114:115], v9 offset:25216                    // 000000006D20: D8EC6280 72000009
	ds_read_b64 v[116:117], v9 offset:26112                    // 000000006D28: D8EC6600 74000009
	ds_read_b64 v[118:119], v9 offset:26240                    // 000000006D30: D8EC6680 76000009
	ds_read_b64 v[120:121], v9 offset:27136                    // 000000006D38: D8EC6A00 78000009
	ds_read_b64 v[122:123], v9 offset:27264                    // 000000006D40: D8EC6A80 7A000009
	ds_read_b64 v[124:125], v9 offset:28160                    // 000000006D48: D8EC6E00 7C000009
	ds_read_b64 v[126:127], v9 offset:28288                    // 000000006D50: D8EC6E80 7E000009
	s_waitcnt vmcnt(0)                                         // 000000006D58: BF8C0F70
	s_barrier                                                  // 000000006D5C: BF8A0000
	s_waitcnt lgkmcnt(7)                                       // 000000006D60: BF8CC77F
	v_mfma_f32_16x16x32_fp8_fp8 v[176:179], a[96:97], v[112:113], 0// 000000006D64: D3F300B0 0A02E160
	s_waitcnt lgkmcnt(6)                                       // 000000006D6C: BF8CC67F
	v_mfma_f32_16x16x32_fp8_fp8 v[176:179], a[98:99], v[114:115], v[176:179]// 000000006D70: D3F300B0 0EC2E562
	s_waitcnt lgkmcnt(5)                                       // 000000006D78: BF8CC57F
	v_mfma_f32_16x16x32_fp8_fp8 v[176:179], a[100:101], v[116:117], v[176:179]// 000000006D7C: D3F300B0 0EC2E964
	s_waitcnt lgkmcnt(4)                                       // 000000006D84: BF8CC47F
	v_mfma_f32_16x16x32_fp8_fp8 v[176:179], a[102:103], v[118:119], v[176:179]// 000000006D88: D3F300B0 0EC2ED66
	s_waitcnt lgkmcnt(3)                                       // 000000006D90: BF8CC37F
	v_mfma_f32_16x16x32_fp8_fp8 v[176:179], a[104:105], v[120:121], v[176:179]// 000000006D94: D3F300B0 0EC2F168
	s_waitcnt lgkmcnt(2)                                       // 000000006D9C: BF8CC27F
	v_mfma_f32_16x16x32_fp8_fp8 v[176:179], a[106:107], v[122:123], v[176:179]// 000000006DA0: D3F300B0 0EC2F56A
	s_waitcnt lgkmcnt(1)                                       // 000000006DA8: BF8CC17F
	v_mfma_f32_16x16x32_fp8_fp8 v[176:179], a[108:109], v[124:125], v[176:179]// 000000006DAC: D3F300B0 0EC2F96C
	s_waitcnt lgkmcnt(0)                                       // 000000006DB4: BF8CC07F
	v_mfma_f32_16x16x32_fp8_fp8 v[176:179], a[110:111], v[126:127], v[176:179]// 000000006DB8: D3F300B0 0EC2FD6E
	v_mfma_f32_16x16x32_fp8_fp8 v[180:183], a[112:113], v[112:113], 0// 000000006DC0: D3F300B4 0A02E170
	v_mfma_f32_16x16x32_fp8_fp8 v[180:183], a[114:115], v[114:115], v[180:183]// 000000006DC8: D3F300B4 0ED2E572
	v_mfma_f32_16x16x32_fp8_fp8 v[180:183], a[116:117], v[116:117], v[180:183]// 000000006DD0: D3F300B4 0ED2E974
	v_mfma_f32_16x16x32_fp8_fp8 v[180:183], a[118:119], v[118:119], v[180:183]// 000000006DD8: D3F300B4 0ED2ED76
	v_mfma_f32_16x16x32_fp8_fp8 v[180:183], a[120:121], v[120:121], v[180:183]// 000000006DE0: D3F300B4 0ED2F178
	v_mfma_f32_16x16x32_fp8_fp8 v[180:183], a[122:123], v[122:123], v[180:183]// 000000006DE8: D3F300B4 0ED2F57A
	v_mfma_f32_16x16x32_fp8_fp8 v[180:183], a[124:125], v[124:125], v[180:183]// 000000006DF0: D3F300B4 0ED2F97C
	v_mfma_f32_16x16x32_fp8_fp8 v[180:183], a[126:127], v[126:127], v[180:183]// 000000006DF8: D3F300B4 0ED2FD7E
	s_nop 4                                                    // 000000006E00: BF800004
	s_branch label_1302                                        // 000000006E04: BF820000

0000000000006e08 <label_1302>:
	v_mul_f32_e32 v208, v49, v208                              // 000000006E08: 0BA1A131
	v_mul_f32_e32 v209, v49, v209                              // 000000006E0C: 0BA3A331
	v_mul_f32_e32 v210, v49, v210                              // 000000006E10: 0BA5A531
	v_mul_f32_e32 v211, v49, v211                              // 000000006E14: 0BA7A731
	v_mul_f32_e32 v212, v49, v212                              // 000000006E18: 0BA9A931
	v_mul_f32_e32 v213, v49, v213                              // 000000006E1C: 0BABAB31
	v_mul_f32_e32 v214, v49, v214                              // 000000006E20: 0BADAD31
	v_mul_f32_e32 v215, v49, v215                              // 000000006E24: 0BAFAF31
	v_mul_f32_e32 v176, v44, v176                              // 000000006E28: 0B61612C
	v_mul_f32_e32 v177, v44, v177                              // 000000006E2C: 0B63632C
	v_mul_f32_e32 v178, v44, v178                              // 000000006E30: 0B65652C
	v_mul_f32_e32 v179, v44, v179                              // 000000006E34: 0B67672C
	v_mul_f32_e32 v180, v44, v180                              // 000000006E38: 0B69692C
	v_mul_f32_e32 v181, v44, v181                              // 000000006E3C: 0B6B6B2C
	v_mul_f32_e32 v182, v44, v182                              // 000000006E40: 0B6D6D2C
	v_mul_f32_e32 v183, v44, v183                              // 000000006E44: 0B6F6F2C
	v_add_f32_e32 v208, v208, v176                             // 000000006E48: 03A161D0
	v_add_f32_e32 v209, v209, v177                             // 000000006E4C: 03A363D1
	v_add_f32_e32 v210, v210, v178                             // 000000006E50: 03A565D2
	v_add_f32_e32 v211, v211, v179                             // 000000006E54: 03A767D3
	v_add_f32_e32 v212, v212, v180                             // 000000006E58: 03A969D4
	v_add_f32_e32 v213, v213, v181                             // 000000006E5C: 03AB6BD5
	v_add_f32_e32 v214, v214, v182                             // 000000006E60: 03AD6DD6
	v_add_f32_e32 v215, v215, v183                             // 000000006E64: 03AF6FD7
	ds_write_b32 v8, v38 offset:16896                          // 000000006E68: D81A4200 00002608
	s_waitcnt lgkmcnt(0)                                       // 000000006E70: BF8CC07F
	s_barrier                                                  // 000000006E74: BF8A0000
	ds_read_b32 v64, v7 offset:16896                           // 000000006E78: D86C4200 40000007
	ds_read_b32 v65, v7 offset:16960                           // 000000006E80: D86C4240 41000007
	ds_read_b32 v66, v7 offset:17024                           // 000000006E88: D86C4280 42000007
	ds_read_b32 v67, v7 offset:17088                           // 000000006E90: D86C42C0 43000007
	ds_read_b32 v68, v7 offset:17152                           // 000000006E98: D86C4300 44000007
	ds_read_b32 v69, v7 offset:17216                           // 000000006EA0: D86C4340 45000007
	ds_read_b32 v70, v7 offset:17280                           // 000000006EA8: D86C4380 46000007
	ds_read_b32 v71, v7 offset:17344                           // 000000006EB0: D86C43C0 47000007
	ds_read_b32 v72, v7 offset:17408                           // 000000006EB8: D86C4400 48000007
	ds_read_b32 v73, v7 offset:17472                           // 000000006EC0: D86C4440 49000007
	ds_read_b32 v74, v7 offset:17536                           // 000000006EC8: D86C4480 4A000007
	ds_read_b32 v75, v7 offset:17600                           // 000000006ED0: D86C44C0 4B000007
	ds_read_b32 v76, v7 offset:17664                           // 000000006ED8: D86C4500 4C000007
	ds_read_b32 v77, v7 offset:17728                           // 000000006EE0: D86C4540 4D000007
	ds_read_b32 v78, v7 offset:17792                           // 000000006EE8: D86C4580 4E000007
	ds_read_b32 v79, v7 offset:17856                           // 000000006EF0: D86C45C0 4F000007
	s_waitcnt lgkmcnt(0)                                       // 000000006EF8: BF8CC07F
	v_mov_b32_e32 v38, 0                                       // 000000006EFC: 7E4C0280
	v_add_f32_e32 v38, v64, v38                                // 000000006F00: 024C4D40
	v_add_f32_e32 v38, v65, v38                                // 000000006F04: 024C4D41
	v_add_f32_e32 v38, v66, v38                                // 000000006F08: 024C4D42
	v_add_f32_e32 v38, v67, v38                                // 000000006F0C: 024C4D43
	v_add_f32_e32 v38, v68, v38                                // 000000006F10: 024C4D44
	v_add_f32_e32 v38, v69, v38                                // 000000006F14: 024C4D45
	v_add_f32_e32 v38, v70, v38                                // 000000006F18: 024C4D46
	v_add_f32_e32 v38, v71, v38                                // 000000006F1C: 024C4D47
	v_add_f32_e32 v38, v72, v38                                // 000000006F20: 024C4D48
	v_add_f32_e32 v38, v73, v38                                // 000000006F24: 024C4D49
	v_add_f32_e32 v38, v74, v38                                // 000000006F28: 024C4D4A
	v_add_f32_e32 v38, v75, v38                                // 000000006F2C: 024C4D4B
	v_add_f32_e32 v38, v76, v38                                // 000000006F30: 024C4D4C
	v_add_f32_e32 v38, v77, v38                                // 000000006F34: 024C4D4D
	v_add_f32_e32 v38, v78, v38                                // 000000006F38: 024C4D4E
	v_add_f32_e32 v38, v79, v38                                // 000000006F3C: 024C4D4F
	s_nop 1                                                    // 000000006F40: BF800001
	v_rcp_f32_e32 v38, v38                                     // 000000006F44: 7E4C4526
	s_nop 1                                                    // 000000006F48: BF800001
	v_mul_f32_e32 v208, v38, v208                              // 000000006F4C: 0BA1A126
	v_mul_f32_e32 v209, v38, v209                              // 000000006F50: 0BA3A326
	v_mul_f32_e32 v210, v38, v210                              // 000000006F54: 0BA5A526
	v_mul_f32_e32 v211, v38, v211                              // 000000006F58: 0BA7A726
	v_mul_f32_e32 v212, v38, v212                              // 000000006F5C: 0BA9A926
	v_mul_f32_e32 v213, v38, v213                              // 000000006F60: 0BABAB26
	v_mul_f32_e32 v214, v38, v214                              // 000000006F64: 0BADAD26
	v_mul_f32_e32 v215, v38, v215                              // 000000006F68: 0BAFAF26
	v_mov_b32_e32 v19, 0xffff0000                              // 000000006F6C: 7E2602FF FFFF0000
	v_mov_b32_e32 v20, 0x7fff0000                              // 000000006F74: 7E2802FF 7FFF0000
	v_mov_b32_e32 v21, 0x7fff                                  // 000000006F7C: 7E2A02FF 00007FFF
	v_cvt_pkrtz_f16_f32 v64, v208, v209                        // 000000006F84: D2960040 0003A3D0
	v_mov_b32_e32 v208, v64                                    // 000000006F8C: 7FA00340
	v_cvt_pkrtz_f16_f32 v64, v210, v211                        // 000000006F90: D2960040 0003A7D2
	v_mov_b32_e32 v209, v64                                    // 000000006F98: 7FA20340
	v_cvt_pkrtz_f16_f32 v64, v212, v213                        // 000000006F9C: D2960040 0003ABD4
	v_mov_b32_e32 v210, v64                                    // 000000006FA4: 7FA40340
	v_cvt_pkrtz_f16_f32 v64, v214, v215                        // 000000006FA8: D2960040 0003AFD6
	v_mov_b32_e32 v211, v64                                    // 000000006FB0: 7FA60340
	s_nop 1                                                    // 000000006FB4: BF800001
	v_lshrrev_b32_e32 v64, 4, v0                               // 000000006FB8: 20800084
	v_mul_i32_i24_e32 v68, 34, v64                             // 000000006FBC: 0C8880A2
	v_and_b32_e32 v64, 15, v0                                  // 000000006FC0: 2680008F
	v_mul_i32_i24_e32 v65, 2, v64                              // 000000006FC4: 0C828082
	v_add_u32_e32 v68, v65, v68                                // 000000006FC8: 68888941
	s_mul_i32 s60, s7, 0x88                                    // 000000006FCC: 923CFF07 00000088
	v_add_u32_e32 v68, s60, v68                                // 000000006FD4: 6888883C
	v_lshlrev_b32_e32 v68, 2, v68                              // 000000006FD8: 24888882
	ds_write_b64 v68, v[208:209] offset:41472                  // 000000006FDC: D89AA200 0000D044
	ds_write_b64 v68, v[210:211] offset:43648                  // 000000006FE4: D89AAA80 0000D244
	v_lshrrev_b32_e32 v64, 1, v0                               // 000000006FEC: 20800081
	v_mul_i32_i24_e32 v68, 34, v64                             // 000000006FF0: 0C8880A2
	v_and_b32_e32 v65, 1, v0                                   // 000000006FF4: 26820081
	v_add_u32_e32 v68, v65, v68                                // 000000006FF8: 68888941
	s_mul_i32 s60, s7, 2                                       // 000000006FFC: 923C8207
	v_add_u32_e32 v68, s60, v68                                // 000000007000: 6888883C
	v_lshlrev_b32_e32 v68, 2, v68                              // 000000007004: 24888882
	s_waitcnt lgkmcnt(0)                                       // 000000007008: BF8CC07F
	s_barrier                                                  // 00000000700C: BF8A0000
	ds_read_b32 v208, v68 offset:41472                         // 000000007010: D86CA200 D0000044
	ds_read_b32 v209, v68 offset:41504                         // 000000007018: D86CA220 D1000044
	ds_read_b32 v210, v68 offset:41536                         // 000000007020: D86CA240 D2000044
	ds_read_b32 v211, v68 offset:41568                         // 000000007028: D86CA260 D3000044
	s_mul_i32 s60, s7, 0x100                                   // 000000007030: 923CFF07 00000100
	v_lshlrev_b32_e32 v64, 2, v0                               // 000000007038: 24800082
	v_add_u32_e64 v64, v64, s60                                // 00000000703C: D1340040 00007940
	s_waitcnt lgkmcnt(0)                                       // 000000007044: BF8CC07F
	buffer_store_dword v208, v64, s[8:11], 0 offen             // 000000007048: E0701000 8002D040
	buffer_store_dword v209, v64, s[8:11], 0 offen offset:1024 // 000000007050: E0701400 8002D140
	buffer_store_dword v210, v64, s[8:11], 0 offen offset:2048 // 000000007058: E0701800 8002D240
	buffer_store_dword v211, v64, s[8:11], 0 offen offset:3072 // 000000007060: E0701C00 8002D340
	s_add_u32 s8, s75, s8                                      // 000000007068: 8008084B
	s_addc_u32 s9, 0, s9                                       // 00000000706C: 82090980
	s_branch label_371E                                        // 000000007070: BF822381

0000000000007074 <label_139D>:
	s_mul_i32 s60, s3, s65                                     // 000000007074: 923C4103
	s_mul_i32 s60, s60, 4                                      // 000000007078: 923C843C
	s_add_u32 s24, s60, s24                                    // 00000000707C: 8018183C
	s_addc_u32 s25, 0, s25                                     // 000000007080: 82191980
	s_mov_b32 s56, 64                                          // 000000007084: BEB800C0
	s_add_u32 s73, s72, 15                                     // 000000007088: 80498F48
	s_lshr_b32 s73, s73, 4                                     // 00000000708C: 8F498449
	s_mul_i32 s60, s73, 4                                      // 000000007090: 923C8449
	s_mov_b32 s26, s60                                         // 000000007094: BE9A003C
	s_sub_u32 s89, s72, s86                                    // 000000007098: 80D95648
	s_mov_b32 s90, 0xff                                        // 00000000709C: BEDA00FF 000000FF
	s_mov_b32 s91, 0x100                                       // 0000000070A4: BEDB00FF 00000100
	v_and_b32_e32 v65, 3, v0                                   // 0000000070AC: 26820083
	v_cmp_eq_u32_e64 s[60:61], 0, v65                          // 0000000070B0: D0CA003C 00028280
	v_and_b32_e32 v64, 12, v0                                  // 0000000070B8: 2680008C
	v_add_u32_e32 v1, s7, v64                                  // 0000000070BC: 68028007
	v_cndmask_b32_e64 v1, 0, v1, s[60:61]                      // 0000000070C0: D1000001 00F20280
	v_and_b32_e32 v65, 3, v0                                   // 0000000070C8: 26820083
	v_cmp_eq_u32_e64 s[60:61], 1, v65                          // 0000000070CC: D0CA003C 00028281
	v_lshrrev_b32_e32 v64, 4, v0                               // 0000000070D4: 20800084
	v_and_b32_e32 v65, 12, v0                                  // 0000000070D8: 2682008C
	v_add_u32_e32 v64, v65, v64                                // 0000000070DC: 68808141
	v_cndmask_b32_e64 v64, 0, v64, s[60:61]                    // 0000000070E0: D1000040 00F28080
	v_add_u32_e32 v1, v1, v64                                  // 0000000070E8: 68028101
	v_lshlrev_b32_e32 v1, 2, v1                                // 0000000070EC: 24020282
	buffer_load_dword v16, v1, s[24:27], 0 offen               // 0000000070F0: E0501000 80061001
	v_add_u32_e32 v1, s56, v1                                  // 0000000070F8: 68020238
	buffer_load_dword v17, v1, s[24:27], 0 offen               // 0000000070FC: E0501000 80061101
	s_cmp_le_u32 s73, 32                                       // 000000007104: BF0BA049
	s_cselect_b32 s56, 0, s56                                  // 000000007108: 85383880
	s_mul_i32 s60, s2, s67                                     // 00000000710C: 923C4302
	s_mul_i32 s61, s84, s74                                    // 000000007110: 923D4A54
	s_add_u32 s60, s60, s61                                    // 000000007114: 803C3D3C
	s_add_u32 s12, s60, s12                                    // 000000007118: 800C0C3C
	s_addc_u32 s13, 0, s13                                     // 00000000711C: 820D0D80
	s_mul_i32 s60, s7, 0x108                                   // 000000007120: 923CFF07 00000108
	s_add_u32 m0, 0, s60                                       // 000000007128: 807C3C80
	s_mul_i32 s60, s7, 0x100                                   // 00000000712C: 923CFF07 00000100
	v_lshlrev_b32_e32 v64, 2, v0                               // 000000007134: 24800082
	v_add_u32_e64 v64, v64, s60                                // 000000007138: D1340040 00007940
	v_add_u32_e32 v65, 0x400, v64                              // 000000007140: 688280FF 00000400
	v_add_u32_e32 v66, 0x800, v64                              // 000000007148: 688480FF 00000800
	v_add_u32_e32 v67, 0xc00, v64                              // 000000007150: 688680FF 00000C00
	buffer_load_dword v64, s[12:15], 0 offen lds               // 000000007158: E0511000 80030040
	s_mul_i32 s60, 4, 0x108                                    // 000000007160: 923CFF84 00000108
	s_add_u32 m0, m0, s60                                      // 000000007168: 807C3C7C
	buffer_load_dword v65, s[12:15], 0 offen lds               // 00000000716C: E0511000 80030041
	s_mul_i32 s60, 4, 0x108                                    // 000000007174: 923CFF84 00000108
	s_add_u32 m0, m0, s60                                      // 00000000717C: 807C3C7C
	buffer_load_dword v66, s[12:15], 0 offen lds               // 000000007180: E0511000 80030042
	s_mul_i32 s60, 4, 0x108                                    // 000000007188: 923CFF84 00000108
	s_add_u32 m0, m0, s60                                      // 000000007190: 807C3C7C
	buffer_load_dword v67, s[12:15], 0 offen lds               // 000000007194: E0511000 80030043
	s_mul_i32 s60, 4, 0x108                                    // 00000000719C: 923CFF84 00000108
	s_add_u32 m0, m0, s60                                      // 0000000071A4: 807C3C7C
	s_add_u32 s12, s74, s12                                    // 0000000071A8: 800C0C4A
	s_addc_u32 s13, 0, s13                                     // 0000000071AC: 820D0D80
	buffer_load_dword v64, s[12:15], 0 offen lds               // 0000000071B0: E0511000 80030040
	s_mul_i32 s60, 4, 0x108                                    // 0000000071B8: 923CFF84 00000108
	s_add_u32 m0, m0, s60                                      // 0000000071C0: 807C3C7C
	buffer_load_dword v65, s[12:15], 0 offen lds               // 0000000071C4: E0511000 80030041
	s_mul_i32 s60, 4, 0x108                                    // 0000000071CC: 923CFF84 00000108
	s_add_u32 m0, m0, s60                                      // 0000000071D4: 807C3C7C
	buffer_load_dword v66, s[12:15], 0 offen lds               // 0000000071D8: E0511000 80030042
	s_mul_i32 s60, 4, 0x108                                    // 0000000071E0: 923CFF84 00000108
	s_add_u32 m0, m0, s60                                      // 0000000071E8: 807C3C7C
	buffer_load_dword v67, s[12:15], 0 offen lds               // 0000000071EC: E0511000 80030043
	s_mul_i32 s60, 4, 0x108                                    // 0000000071F4: 923CFF84 00000108
	s_add_u32 m0, m0, s60                                      // 0000000071FC: 807C3C7C
	s_add_u32 s12, s74, s12                                    // 000000007200: 800C0C4A
	s_addc_u32 s13, 0, s13                                     // 000000007204: 820D0D80
	v_lshrrev_b32_e32 v64, 4, v0                               // 000000007208: 20800084
	v_lshlrev_b32_e32 v64, 2, v64                              // 00000000720C: 24808082
	v_and_b32_e32 v65, 3, v0                                   // 000000007210: 26820083
	v_add_u32_e32 v64, v65, v64                                // 000000007214: 68808141
	v_lshlrev_b32_e32 v59, 2, v64                              // 000000007218: 24768082
	v_mov_b32_e32 v60, v59                                     // 00000000721C: 7E78033B
	s_mul_i32 s60, s2, 64                                      // 000000007220: 923CC002
	s_add_u32 s32, s60, s32                                    // 000000007224: 8020203C
	s_addc_u32 s33, 0, s33                                     // 000000007228: 82212180
	s_add_u32 s36, s60, s36                                    // 00000000722C: 8024243C
	s_addc_u32 s37, 0, s37                                     // 000000007230: 82252580
	s_mul_i32 s60, s2, s76                                     // 000000007234: 923C4C02
	s_mul_i32 s61, s84, s75                                    // 000000007238: 923D4B54
	s_add_u32 s60, s60, s61                                    // 00000000723C: 803C3D3C
	s_add_u32 s8, s60, s8                                      // 000000007240: 8008083C
	s_addc_u32 s9, 0, s9                                       // 000000007244: 82090980
	s_mov_b32 s70, 0                                           // 000000007248: BEC60080
	s_and_b32 s71, s72, 0xffffff00                             // 00000000724C: 8647FF48 FFFFFF00
	s_mov_b32 s42, 0xff00ff00                                  // 000000007254: BEAA00FF FF00FF00
	s_mov_b32 s43, 0xff00ff00                                  // 00000000725C: BEAB00FF FF00FF00
	s_mov_b32 s44, 0xf0f0f0f0                                  // 000000007264: BEAC00FF F0F0F0F0
	s_mov_b32 s45, 0xf0f0f0f0                                  // 00000000726C: BEAD00FF F0F0F0F0
	s_mov_b32 s78, 0xff00ff                                    // 000000007274: BECE00FF 00FF00FF
	s_mov_b32 s79, 0xff00ff                                    // 00000000727C: BECF00FF 00FF00FF
	v_mul_i32_i24_e64 v63, 64, s66                             // 000000007284: D106003F 000084C0
	v_mov_b32_e32 v54, s68                                     // 00000000728C: 7E6C0244
	s_mov_b32 s52, 0x7060302                                   // 000000007290: BEB400FF 07060302
	s_mov_b32 s53, 0x400                                       // 000000007298: BEB500FF 00000400
	s_mov_b32 s54, 0x40100                                     // 0000000072A0: BEB600FF 00040100
	s_mov_b32 s55, 0x4020100                                   // 0000000072A8: BEB700FF 04020100
	s_mov_b32 s6, 0x3fb8aa3b                                   // 0000000072B0: BE8600FF 3FB8AA3B
	v_mov_b32_e32 v11, 0xff800000                              // 0000000072B8: 7E1602FF FF800000
	v_mov_b32_e32 v12, 0xff800000                              // 0000000072C0: 7E1802FF FF800000
	v_mov_b32_e32 v49, 0                                       // 0000000072C8: 7E620280
	v_mov_b32_e32 v50, 0                                       // 0000000072CC: 7E640280
	v_mov_b32_e32 v38, 0                                       // 0000000072D0: 7E4C0280
	v_mov_b32_e32 v39, 0                                       // 0000000072D4: 7E4E0280
	v_mov_b32_e32 v44, 0                                       // 0000000072D8: 7E580280
	v_mov_b32_e32 v45, 0                                       // 0000000072DC: 7E5A0280
	v_add_u32_e32 v1, s56, v1                                  // 0000000072E0: 68020238
	v_and_b32_e32 v7, 15, v0                                   // 0000000072E4: 260E008F
	v_lshlrev_b32_e32 v7, 2, v7                                // 0000000072E8: 240E0E82
	v_lshlrev_b32_e32 v8, 2, v0                                // 0000000072EC: 24100082
	s_mul_i32 s60, 0x100, s7                                   // 0000000072F0: 923C07FF 00000100
	v_add_u32_e32 v8, s60, v8                                  // 0000000072F8: 6810103C
	v_lshrrev_b32_e32 v64, 4, v0                               // 0000000072FC: 20800084
	v_lshlrev_b32_e32 v65, 6, v64                              // 000000007300: 24828086
	v_and_b32_e32 v64, 15, v0                                  // 000000007304: 2680008F
	v_lshlrev_b32_e32 v64, 1, v64                              // 000000007308: 24808081
	v_add_u32_e32 v65, v64, v65                                // 00000000730C: 68828340
	v_lshlrev_b32_e32 v9, 2, v65                               // 000000007310: 24128282
	v_lshrrev_b32_e32 v64, 5, v0                               // 000000007314: 20800085
	v_lshlrev_b32_e32 v65, 5, v64                              // 000000007318: 24828085
	v_and_b32_e32 v64, 31, v0                                  // 00000000731C: 2680009F
	v_lshrrev_b32_e32 v66, 4, v64                              // 000000007320: 20848084
	v_add_u32_e32 v65, v66, v65                                // 000000007324: 68828342
	v_and_b32_e32 v64, 15, v0                                  // 000000007328: 2680008F
	v_lshlrev_b32_e32 v64, 1, v64                              // 00000000732C: 24808081
	v_add_u32_e32 v65, v64, v65                                // 000000007330: 68828340
	v_lshlrev_b32_e32 v64, 2, v65                              // 000000007334: 24808282
	s_mul_i32 s60, 0x100, s7                                   // 000000007338: 923C07FF 00000100
	v_add_u32_e64 v10, v64, s60                                // 000000007340: D134000A 00007940
	v_lshlrev_b32_e32 v5, 4, v0                                // 000000007348: 240A0084
	s_mul_i32 s60, s2, s69                                     // 00000000734C: 923C4502
	s_add_u32 s16, s60, s16                                    // 000000007350: 8010103C
	s_addc_u32 s17, 0, s17                                     // 000000007354: 82111180
	v_and_b32_e32 v64, 15, v0                                  // 000000007358: 2680008F
	v_lshlrev_b32_e32 v6, 4, v64                               // 00000000735C: 240C8084
	s_mul_i32 s61, s2, s69                                     // 000000007360: 923D4502
	s_mul_i32 s60, s7, 0x100                                   // 000000007364: 923CFF07 00000100
	s_add_u32 s60, s60, s61                                    // 00000000736C: 803C3D3C
	s_add_u32 s20, s60, s20                                    // 000000007370: 8014143C
	s_addc_u32 s21, 0, s21                                     // 000000007374: 82151580
	s_waitcnt vmcnt(4)                                         // 000000007378: BF8C0F74
	v_mul_u32_u24_dpp v64, v16, v54 row_newbcast:0 row_mask:0xf bank_mask:0xf// 00000000737C: 10806CFA FF015010
	v_mul_u32_u24_dpp v65, v16, v54 row_newbcast:4 row_mask:0xf bank_mask:0xf// 000000007384: 10826CFA FF015410
	v_mul_u32_u24_dpp v66, v16, v54 row_newbcast:8 row_mask:0xf bank_mask:0xf// 00000000738C: 10846CFA FF015810
	v_mul_u32_u24_dpp v67, v16, v54 row_newbcast:12 row_mask:0xf bank_mask:0xf// 000000007394: 10866CFA FF015C10
	v_add_u32_e32 v22, v64, v5                                 // 00000000739C: 682C0B40
	v_add_u32_e32 v23, v65, v5                                 // 0000000073A0: 682E0B41
	v_add_u32_e32 v24, v66, v5                                 // 0000000073A4: 68300B42
	v_add_u32_e32 v25, v67, v5                                 // 0000000073A8: 68320B43
	v_mul_u32_u24_dpp v64, v16, v54 row_newbcast:1 row_mask:0xf bank_mask:0xf// 0000000073AC: 10806CFA FF015110
	v_mul_u32_u24_dpp v65, v16, v54 row_newbcast:5 row_mask:0xf bank_mask:0xf// 0000000073B4: 10826CFA FF015510
	v_mul_u32_u24_dpp v66, v16, v54 row_newbcast:9 row_mask:0xf bank_mask:0xf// 0000000073BC: 10846CFA FF015910
	v_mul_u32_u24_dpp v67, v16, v54 row_newbcast:13 row_mask:0xf bank_mask:0xf// 0000000073C4: 10866CFA FF015D10
	v_add_u32_e32 v30, v64, v6                                 // 0000000073CC: 683C0D40
	v_add_u32_e32 v31, v65, v6                                 // 0000000073D0: 683E0D41
	v_add_u32_e32 v32, v66, v6                                 // 0000000073D4: 68400D42
	v_add_u32_e32 v33, v67, v6                                 // 0000000073D8: 68420D43
	v_mul_u32_u24_dpp v64, v16, v63 quad_perm:[0,0,0,0] row_mask:0xf bank_mask:0xf// 0000000073DC: 10807EFA FF000010
	v_add_u32_e32 v2, v64, v59                                 // 0000000073E4: 68047740
	v_mul_u32_u24_dpp v64, v16, v63 quad_perm:[0,0,0,0] row_mask:0xf bank_mask:0xf// 0000000073E8: 10807EFA FF000010
	v_add_u32_e32 v55, v64, v60                                // 0000000073F0: 686E7940
	buffer_load_dword v42, v2, s[32:35], 0 offen               // 0000000073F4: E0501000 80082A02
	buffer_load_dwordx4 a[0:3], v22, s[16:19], 0 offen         // 0000000073FC: E05C1000 80840016
	buffer_load_dwordx4 a[4:7], v22, s[16:19], 0 offen offset:1024// 000000007404: E05C1400 80840416
	buffer_load_dwordx4 a[8:11], v23, s[16:19], 0 offen        // 00000000740C: E05C1000 80840817
	buffer_load_dwordx4 a[12:15], v23, s[16:19], 0 offen offset:1024// 000000007414: E05C1400 80840C17
	buffer_load_dwordx4 a[16:19], v24, s[16:19], 0 offen       // 00000000741C: E05C1000 80841018
	buffer_load_dwordx4 a[20:23], v24, s[16:19], 0 offen offset:1024// 000000007424: E05C1400 80841418
	buffer_load_dwordx4 a[24:27], v25, s[16:19], 0 offen       // 00000000742C: E05C1000 80841819
	buffer_load_dwordx4 a[28:31], v25, s[16:19], 0 offen offset:1024// 000000007434: E05C1400 80841C19
	buffer_load_dword v57, v55, s[36:39], 0 offen              // 00000000743C: E0501000 80093937
	buffer_load_dwordx4 a[64:67], v30, s[20:23], 0 offen       // 000000007444: E05C1000 8085401E
	buffer_load_dwordx4 a[68:71], v31, s[20:23], 0 offen       // 00000000744C: E05C1000 8085441F
	buffer_load_dwordx4 a[72:75], v32, s[20:23], 0 offen       // 000000007454: E05C1000 80854820
	buffer_load_dwordx4 a[76:79], v33, s[20:23], 0 offen       // 00000000745C: E05C1000 80854C21
	buffer_load_dwordx4 a[80:83], v30, s[20:23], 0 offen offset:1024// 000000007464: E05C1400 8085501E
	buffer_load_dwordx4 a[84:87], v31, s[20:23], 0 offen offset:1024// 00000000746C: E05C1400 8085541F
	buffer_load_dwordx4 a[88:91], v32, s[20:23], 0 offen offset:1024// 000000007474: E05C1400 80855820
	buffer_load_dwordx4 a[92:95], v33, s[20:23], 0 offen offset:1024// 00000000747C: E05C1400 80855C21
	v_lshrrev_b32_e32 v64, 4, v0                               // 000000007484: 20800084
	v_lshlrev_b32_e32 v65, 1, v64                              // 000000007488: 24828081
	v_and_b32_e32 v64, 15, v0                                  // 00000000748C: 2680008F
	v_mul_i32_i24_e32 v64, 0x42, v64                           // 000000007490: 0C8080FF 00000042
	v_add_u32_e32 v65, v64, v65                                // 000000007498: 68828340
	v_lshlrev_b32_e32 v4, 2, v65                               // 00000000749C: 24088282
	s_mul_i32 s60, s7, 32                                      // 0000000074A0: 923CA007
	v_add_u32_e32 v4, s60, v4                                  // 0000000074A4: 6808083C
	s_waitcnt vmcnt(16) lgkmcnt(0)                             // 0000000074A8: BF8C4070
	s_barrier                                                  // 0000000074AC: BF8A0000
	ds_read_b64 v[80:81], v4                                   // 0000000074B0: D8EC0000 50000004
	ds_read_b64 v[84:85], v4 offset:128                        // 0000000074B8: D8EC0080 54000004
	s_waitcnt lgkmcnt(0)                                       // 0000000074C0: BF8CC07F
	v_and_b32_e32 v64, 0xffff, v80                             // 0000000074C4: 2680A0FF 0000FFFF
	v_lshrrev_b32_e32 v65, 16, v80                             // 0000000074CC: 2082A090
	v_and_b32_e32 v66, 0xffff, v81                             // 0000000074D0: 2684A2FF 0000FFFF
	v_lshrrev_b32_e32 v67, 16, v81                             // 0000000074D8: 2086A290
	v_cvt_f32_f16_e32 v80, v64                                 // 0000000074DC: 7EA01740
	v_cvt_f32_f16_e32 v81, v65                                 // 0000000074E0: 7EA21741
	v_cvt_f32_f16_e32 v82, v66                                 // 0000000074E4: 7EA41742
	v_cvt_f32_f16_e32 v83, v67                                 // 0000000074E8: 7EA61743
	v_and_b32_e32 v64, 0xffff, v84                             // 0000000074EC: 2680A8FF 0000FFFF
	v_lshrrev_b32_e32 v65, 16, v84                             // 0000000074F4: 2082A890
	v_and_b32_e32 v66, 0xffff, v85                             // 0000000074F8: 2684AAFF 0000FFFF
	v_lshrrev_b32_e32 v67, 16, v85                             // 000000007500: 2086AA90
	v_cvt_f32_f16_e32 v84, v64                                 // 000000007504: 7EA81740
	v_cvt_f32_f16_e32 v85, v65                                 // 000000007508: 7EAA1741
	v_cvt_f32_f16_e32 v86, v66                                 // 00000000750C: 7EAC1742
	v_cvt_f32_f16_e32 v87, v67                                 // 000000007510: 7EAE1743
	v_mov_b32_e32 v48, 0x358637bd                              // 000000007514: 7E6002FF 358637BD
	v_max3_f32 v48, |v80|, |v81|, v48                          // 00000000751C: D1D30330 04C2A350
	v_max3_f32 v48, |v82|, |v83|, v48                          // 000000007524: D1D30330 04C2A752
	v_max3_f32 v48, |v84|, |v85|, v48                          // 00000000752C: D1D30330 04C2AB54
	v_max3_f32 v48, |v86|, |v87|, v48                          // 000000007534: D1D30330 04C2AF56
	ds_write_b32 v8, v48 offset:16896                          // 00000000753C: D81A4200 00003008
	s_waitcnt lgkmcnt(0)                                       // 000000007544: BF8CC07F
	s_barrier                                                  // 000000007548: BF8A0000
	ds_read_b32 v64, v7 offset:16896                           // 00000000754C: D86C4200 40000007
	ds_read_b32 v65, v7 offset:16960                           // 000000007554: D86C4240 41000007
	ds_read_b32 v66, v7 offset:17024                           // 00000000755C: D86C4280 42000007
	ds_read_b32 v67, v7 offset:17088                           // 000000007564: D86C42C0 43000007
	ds_read_b32 v68, v7 offset:17152                           // 00000000756C: D86C4300 44000007
	ds_read_b32 v69, v7 offset:17216                           // 000000007574: D86C4340 45000007
	ds_read_b32 v70, v7 offset:17280                           // 00000000757C: D86C4380 46000007
	ds_read_b32 v71, v7 offset:17344                           // 000000007584: D86C43C0 47000007
	ds_read_b32 v72, v7 offset:17408                           // 00000000758C: D86C4400 48000007
	ds_read_b32 v73, v7 offset:17472                           // 000000007594: D86C4440 49000007
	ds_read_b32 v74, v7 offset:17536                           // 00000000759C: D86C4480 4A000007
	ds_read_b32 v75, v7 offset:17600                           // 0000000075A4: D86C44C0 4B000007
	ds_read_b32 v76, v7 offset:17664                           // 0000000075AC: D86C4500 4C000007
	ds_read_b32 v77, v7 offset:17728                           // 0000000075B4: D86C4540 4D000007
	ds_read_b32 v78, v7 offset:17792                           // 0000000075BC: D86C4580 4E000007
	ds_read_b32 v79, v7 offset:17856                           // 0000000075C4: D86C45C0 4F000007
	s_waitcnt lgkmcnt(0)                                       // 0000000075CC: BF8CC07F
	v_max3_f32 v48, |v64|, |v65|, v48                          // 0000000075D0: D1D30330 04C28340
	v_max3_f32 v48, |v66|, |v67|, v48                          // 0000000075D8: D1D30330 04C28742
	v_max3_f32 v48, |v68|, |v69|, v48                          // 0000000075E0: D1D30330 04C28B44
	v_max3_f32 v48, |v70|, |v71|, v48                          // 0000000075E8: D1D30330 04C28F46
	v_max3_f32 v48, |v72|, |v73|, v48                          // 0000000075F0: D1D30330 04C29348
	v_max3_f32 v48, |v74|, |v75|, v48                          // 0000000075F8: D1D30330 04C2974A
	v_max3_f32 v48, |v76|, |v77|, v48                          // 000000007600: D1D30330 04C29B4C
	v_max3_f32 v48, |v78|, |v79|, v48                          // 000000007608: D1D30330 04C29F4E
	v_rcp_f32_e32 v48, v48                                     // 000000007610: 7E604530
	s_nop 1                                                    // 000000007614: BF800001
	v_mul_f32_e32 v48, 0x43700000, v48                         // 000000007618: 0A6060FF 43700000
	v_mul_f32_e32 v80, v48, v80                                // 000000007620: 0AA0A130
	v_mul_f32_e32 v81, v48, v81                                // 000000007624: 0AA2A330
	v_mul_f32_e32 v82, v48, v82                                // 000000007628: 0AA4A530
	v_mul_f32_e32 v83, v48, v83                                // 00000000762C: 0AA6A730
	v_mul_f32_e32 v84, v48, v84                                // 000000007630: 0AA8A930
	v_mul_f32_e32 v85, v48, v85                                // 000000007634: 0AAAAB30
	v_mul_f32_e32 v86, v48, v86                                // 000000007638: 0AACAD30
	v_mul_f32_e32 v87, v48, v87                                // 00000000763C: 0AAEAF30
	v_rcp_f32_e32 v18, v48                                     // 000000007640: 7E244530
	v_cvt_pk_fp8_f32 v80, v80, v81                             // 000000007644: D2A20050 0002A350
	v_cvt_pk_fp8_f32 v80, v82, v83 op_sel:[0,0,1]              // 00000000764C: D2A24050 0002A752
	v_cvt_pk_fp8_f32 v81, v84, v85                             // 000000007654: D2A20051 0002AB54
	v_cvt_pk_fp8_f32 v81, v86, v87 op_sel:[0,0,1]              // 00000000765C: D2A24051 0002AF56
	ds_write_b32 v10, v80 offset:25088                         // 000000007664: D81A6200 0000500A
	ds_write_b32 v10, v81 offset:26112                         // 00000000766C: D81A6600 0000510A
	s_waitcnt lgkmcnt(0)                                       // 000000007674: BF8CC07F
	s_barrier                                                  // 000000007678: BF8A0000
	ds_read_b64 v[80:81], v9 offset:25088                      // 00000000767C: D8EC6200 50000009
	ds_read_b64 v[82:83], v9 offset:25216                      // 000000007684: D8EC6280 52000009
	ds_read_b64 v[84:85], v9 offset:26112                      // 00000000768C: D8EC6600 54000009
	ds_read_b64 v[86:87], v9 offset:26240                      // 000000007694: D8EC6680 56000009
	v_mov_b32_e32 v208, 0                                      // 00000000769C: 7FA00280
	v_mov_b32_e32 v209, 0                                      // 0000000076A0: 7FA20280
	v_mov_b32_e32 v210, 0                                      // 0000000076A4: 7FA40280
	v_mov_b32_e32 v211, 0                                      // 0000000076A8: 7FA60280
	v_mov_b32_e32 v212, 0                                      // 0000000076AC: 7FA80280
	v_mov_b32_e32 v213, 0                                      // 0000000076B0: 7FAA0280
	v_mov_b32_e32 v214, 0                                      // 0000000076B4: 7FAC0280
	v_mov_b32_e32 v215, 0                                      // 0000000076B8: 7FAE0280
	v_mov_b32_e32 v176, 0                                      // 0000000076BC: 7F600280
	v_mov_b32_e32 v177, 0                                      // 0000000076C0: 7F620280
	v_mov_b32_e32 v178, 0                                      // 0000000076C4: 7F640280
	v_mov_b32_e32 v179, 0                                      // 0000000076C8: 7F660280
	v_mov_b32_e32 v180, 0                                      // 0000000076CC: 7F680280
	v_mov_b32_e32 v181, 0                                      // 0000000076D0: 7F6A0280
	v_mov_b32_e32 v182, 0                                      // 0000000076D4: 7F6C0280
	v_mov_b32_e32 v183, 0                                      // 0000000076D8: 7F6E0280
	ds_read_b64 v[88:89], v4 offset:4224                       // 0000000076DC: D8EC1080 58000004
	ds_read_b64 v[92:93], v4 offset:4352                       // 0000000076E4: D8EC1100 5C000004
	s_waitcnt lgkmcnt(0)                                       // 0000000076EC: BF8CC07F
	v_and_b32_e32 v64, 0xffff, v88                             // 0000000076F0: 2680B0FF 0000FFFF
	v_lshrrev_b32_e32 v65, 16, v88                             // 0000000076F8: 2082B090
	v_and_b32_e32 v66, 0xffff, v89                             // 0000000076FC: 2684B2FF 0000FFFF
	v_lshrrev_b32_e32 v67, 16, v89                             // 000000007704: 2086B290
	v_cvt_f32_f16_e32 v88, v64                                 // 000000007708: 7EB01740
	v_cvt_f32_f16_e32 v89, v65                                 // 00000000770C: 7EB21741
	v_cvt_f32_f16_e32 v90, v66                                 // 000000007710: 7EB41742
	v_cvt_f32_f16_e32 v91, v67                                 // 000000007714: 7EB61743
	v_and_b32_e32 v64, 0xffff, v92                             // 000000007718: 2680B8FF 0000FFFF
	v_lshrrev_b32_e32 v65, 16, v92                             // 000000007720: 2082B890
	v_and_b32_e32 v66, 0xffff, v93                             // 000000007724: 2684BAFF 0000FFFF
	v_lshrrev_b32_e32 v67, 16, v93                             // 00000000772C: 2086BA90
	v_cvt_f32_f16_e32 v92, v64                                 // 000000007730: 7EB81740
	v_cvt_f32_f16_e32 v93, v65                                 // 000000007734: 7EBA1741
	v_cvt_f32_f16_e32 v94, v66                                 // 000000007738: 7EBC1742
	v_cvt_f32_f16_e32 v95, v67                                 // 00000000773C: 7EBE1743
	v_mov_b32_e32 v48, 0x358637bd                              // 000000007740: 7E6002FF 358637BD
	v_max3_f32 v48, |v88|, |v89|, v48                          // 000000007748: D1D30330 04C2B358
	v_max3_f32 v48, |v90|, |v91|, v48                          // 000000007750: D1D30330 04C2B75A
	v_max3_f32 v48, |v92|, |v93|, v48                          // 000000007758: D1D30330 04C2BB5C
	v_max3_f32 v48, |v94|, |v95|, v48                          // 000000007760: D1D30330 04C2BF5E
	ds_write_b32 v8, v48 offset:16896                          // 000000007768: D81A4200 00003008
	s_waitcnt lgkmcnt(0)                                       // 000000007770: BF8CC07F
	s_barrier                                                  // 000000007774: BF8A0000
	ds_read_b32 v64, v7 offset:16896                           // 000000007778: D86C4200 40000007
	ds_read_b32 v65, v7 offset:16960                           // 000000007780: D86C4240 41000007
	ds_read_b32 v66, v7 offset:17024                           // 000000007788: D86C4280 42000007
	ds_read_b32 v67, v7 offset:17088                           // 000000007790: D86C42C0 43000007
	ds_read_b32 v68, v7 offset:17152                           // 000000007798: D86C4300 44000007
	ds_read_b32 v69, v7 offset:17216                           // 0000000077A0: D86C4340 45000007
	ds_read_b32 v70, v7 offset:17280                           // 0000000077A8: D86C4380 46000007
	ds_read_b32 v71, v7 offset:17344                           // 0000000077B0: D86C43C0 47000007
	ds_read_b32 v72, v7 offset:17408                           // 0000000077B8: D86C4400 48000007
	ds_read_b32 v73, v7 offset:17472                           // 0000000077C0: D86C4440 49000007
	ds_read_b32 v74, v7 offset:17536                           // 0000000077C8: D86C4480 4A000007
	ds_read_b32 v75, v7 offset:17600                           // 0000000077D0: D86C44C0 4B000007
	ds_read_b32 v76, v7 offset:17664                           // 0000000077D8: D86C4500 4C000007
	ds_read_b32 v77, v7 offset:17728                           // 0000000077E0: D86C4540 4D000007
	ds_read_b32 v78, v7 offset:17792                           // 0000000077E8: D86C4580 4E000007
	ds_read_b32 v79, v7 offset:17856                           // 0000000077F0: D86C45C0 4F000007
	s_waitcnt lgkmcnt(0)                                       // 0000000077F8: BF8CC07F
	v_max3_f32 v48, |v64|, |v65|, v48                          // 0000000077FC: D1D30330 04C28340
	v_max3_f32 v48, |v66|, |v67|, v48                          // 000000007804: D1D30330 04C28742
	v_max3_f32 v48, |v68|, |v69|, v48                          // 00000000780C: D1D30330 04C28B44
	v_max3_f32 v48, |v70|, |v71|, v48                          // 000000007814: D1D30330 04C28F46
	v_max3_f32 v48, |v72|, |v73|, v48                          // 00000000781C: D1D30330 04C29348
	v_max3_f32 v48, |v74|, |v75|, v48                          // 000000007824: D1D30330 04C2974A
	v_max3_f32 v48, |v76|, |v77|, v48                          // 00000000782C: D1D30330 04C29B4C
	v_max3_f32 v48, |v78|, |v79|, v48                          // 000000007834: D1D30330 04C29F4E
	v_rcp_f32_e32 v48, v48                                     // 00000000783C: 7E604530
	s_nop 1                                                    // 000000007840: BF800001
	v_mul_f32_e32 v48, 0x43700000, v48                         // 000000007844: 0A6060FF 43700000
	v_mul_f32_e32 v88, v48, v88                                // 00000000784C: 0AB0B130
	v_mul_f32_e32 v89, v48, v89                                // 000000007850: 0AB2B330
	v_mul_f32_e32 v90, v48, v90                                // 000000007854: 0AB4B530
	v_mul_f32_e32 v91, v48, v91                                // 000000007858: 0AB6B730
	v_mul_f32_e32 v92, v48, v92                                // 00000000785C: 0AB8B930
	v_mul_f32_e32 v93, v48, v93                                // 000000007860: 0ABABB30
	v_mul_f32_e32 v94, v48, v94                                // 000000007864: 0ABCBD30
	v_mul_f32_e32 v95, v48, v95                                // 000000007868: 0ABEBF30
	v_rcp_f32_e32 v19, v48                                     // 00000000786C: 7E264530
	v_cvt_pk_fp8_f32 v88, v88, v89                             // 000000007870: D2A20058 0002B358
	v_cvt_pk_fp8_f32 v88, v90, v91 op_sel:[0,0,1]              // 000000007878: D2A24058 0002B75A
	v_cvt_pk_fp8_f32 v89, v92, v93                             // 000000007880: D2A20059 0002BB5C
	v_cvt_pk_fp8_f32 v89, v94, v95 op_sel:[0,0,1]              // 000000007888: D2A24059 0002BF5E
	ds_write_b32 v10, v88 offset:25088                         // 000000007890: D81A6200 0000580A
	ds_write_b32 v10, v89 offset:26112                         // 000000007898: D81A6600 0000590A
	s_waitcnt lgkmcnt(0)                                       // 0000000078A0: BF8CC07F
	s_barrier                                                  // 0000000078A4: BF8A0000
	ds_read_b64 v[88:89], v9 offset:25088                      // 0000000078A8: D8EC6200 58000009
	ds_read_b64 v[90:91], v9 offset:25216                      // 0000000078B0: D8EC6280 5A000009
	ds_read_b64 v[92:93], v9 offset:26112                      // 0000000078B8: D8EC6600 5C000009
	ds_read_b64 v[94:95], v9 offset:26240                      // 0000000078C0: D8EC6680 5E000009
	v_mov_b32_e32 v216, 0                                      // 0000000078C8: 7FB00280
	v_mov_b32_e32 v217, 0                                      // 0000000078CC: 7FB20280
	v_mov_b32_e32 v218, 0                                      // 0000000078D0: 7FB40280
	v_mov_b32_e32 v219, 0                                      // 0000000078D4: 7FB60280
	v_mov_b32_e32 v220, 0                                      // 0000000078D8: 7FB80280
	v_mov_b32_e32 v221, 0                                      // 0000000078DC: 7FBA0280
	v_mov_b32_e32 v222, 0                                      // 0000000078E0: 7FBC0280
	v_mov_b32_e32 v223, 0                                      // 0000000078E4: 7FBE0280
	v_mov_b32_e32 v184, 0                                      // 0000000078E8: 7F700280
	v_mov_b32_e32 v185, 0                                      // 0000000078EC: 7F720280
	v_mov_b32_e32 v186, 0                                      // 0000000078F0: 7F740280
	v_mov_b32_e32 v187, 0                                      // 0000000078F4: 7F760280
	v_mov_b32_e32 v188, 0                                      // 0000000078F8: 7F780280
	v_mov_b32_e32 v189, 0                                      // 0000000078FC: 7F7A0280
	v_mov_b32_e32 v190, 0                                      // 000000007900: 7F7C0280
	v_mov_b32_e32 v191, 0                                      // 000000007904: 7F7E0280
	s_waitcnt vmcnt(8) lgkmcnt(0)                              // 000000007908: BF8C0078
	s_barrier                                                  // 00000000790C: BF8A0000
	s_cmp_lt_u32 s73, 16                                       // 000000007910: BF0A9049
	s_cbranch_scc1 label_2A61                                  // 000000007914: BF85149B
	s_cmp_lt_i32 s7, 2                                         // 000000007918: BF048207
	s_cbranch_scc0 label_2016                                  // 00000000791C: BF840A4E

0000000000007920 <label_15C8>:
	s_waitcnt vmcnt(8) lgkmcnt(0)                              // 000000007920: BF8C0078
	v_mul_u32_u24_dpp v64, v17, v54 row_newbcast:0 row_mask:0xf bank_mask:0xf// 000000007924: 10806CFA FF015011
	v_mul_u32_u24_dpp v65, v17, v54 row_newbcast:4 row_mask:0xf bank_mask:0xf// 00000000792C: 10826CFA FF015411
	v_mul_u32_u24_dpp v66, v17, v54 row_newbcast:8 row_mask:0xf bank_mask:0xf// 000000007934: 10846CFA FF015811
	v_mul_u32_u24_dpp v67, v17, v54 row_newbcast:12 row_mask:0xf bank_mask:0xf// 00000000793C: 10866CFA FF015C11
	v_add_u32_e32 v26, v64, v5                                 // 000000007944: 68340B40
	v_add_u32_e32 v27, v65, v5                                 // 000000007948: 68360B41
	v_add_u32_e32 v28, v66, v5                                 // 00000000794C: 68380B42
	v_add_u32_e32 v29, v67, v5                                 // 000000007950: 683A0B43
	v_mul_u32_u24_dpp v64, v17, v63 quad_perm:[0,0,0,0] row_mask:0xf bank_mask:0xf// 000000007954: 10807EFA FF000011
	v_add_u32_e32 v3, v64, v59                                 // 00000000795C: 68067740
	v_mul_u32_u24_dpp v64, v17, v63 quad_perm:[0,0,0,0] row_mask:0xf bank_mask:0xf// 000000007960: 10807EFA FF000011
	v_add_u32_e32 v56, v64, v60                                // 000000007968: 68707940
	v_mfma_f32_16x16x32_fp8_fp8 v[112:115], a[0:1], v[80:81], 0// 00000000796C: D3F30070 0A02A100
	v_mfma_f32_16x16x32_fp8_fp8 v[112:115], a[2:3], v[82:83], v[112:115]// 000000007974: D3F30070 0DC2A502
	buffer_load_dwordx4 a[32:35], v26, s[16:19], 0 offen       // 00000000797C: E05C1000 8084201A
	v_mfma_f32_16x16x32_fp8_fp8 v[112:115], a[4:5], v[84:85], v[112:115]// 000000007984: D3F30070 0DC2A904
	v_mfma_f32_16x16x32_fp8_fp8 v[112:115], a[6:7], v[86:87], v[112:115]// 00000000798C: D3F30070 0DC2AD06
	buffer_load_dword v16, v1, s[24:27], 0 offen               // 000000007994: E0501000 80061001
	v_mfma_f32_16x16x32_fp8_fp8 v[116:119], a[8:9], v[80:81], 0// 00000000799C: D3F30074 0A02A108
	v_mfma_f32_16x16x32_fp8_fp8 v[116:119], a[10:11], v[82:83], v[116:119]// 0000000079A4: D3F30074 0DD2A50A
	buffer_load_dwordx4 a[36:39], v26, s[16:19], 0 offen offset:1024// 0000000079AC: E05C1400 8084241A
	v_mfma_f32_16x16x32_fp8_fp8 v[116:119], a[12:13], v[84:85], v[116:119]// 0000000079B4: D3F30074 0DD2A90C
	v_mfma_f32_16x16x32_fp8_fp8 v[116:119], a[14:15], v[86:87], v[116:119]// 0000000079BC: D3F30074 0DD2AD0E
	v_mfma_f32_16x16x32_fp8_fp8 v[120:123], a[16:17], v[80:81], 0// 0000000079C4: D3F30078 0A02A110
	v_mfma_f32_16x16x32_fp8_fp8 v[120:123], a[18:19], v[82:83], v[120:123]// 0000000079CC: D3F30078 0DE2A512
	buffer_load_dwordx4 a[40:43], v27, s[16:19], 0 offen       // 0000000079D4: E05C1000 8084281B
	v_mfma_f32_16x16x32_fp8_fp8 v[120:123], a[20:21], v[84:85], v[120:123]// 0000000079DC: D3F30078 0DE2A914
	v_mfma_f32_16x16x32_fp8_fp8 v[120:123], a[22:23], v[86:87], v[120:123]// 0000000079E4: D3F30078 0DE2AD16
	v_mfma_f32_16x16x32_fp8_fp8 v[124:127], a[24:25], v[80:81], 0// 0000000079EC: D3F3007C 0A02A118
	v_mfma_f32_16x16x32_fp8_fp8 v[124:127], a[26:27], v[82:83], v[124:127]// 0000000079F4: D3F3007C 0DF2A51A
	buffer_load_dwordx4 a[44:47], v27, s[16:19], 0 offen offset:1024// 0000000079FC: E05C1400 80842C1B
	v_mfma_f32_16x16x32_fp8_fp8 v[124:127], a[28:29], v[84:85], v[124:127]// 000000007A04: D3F3007C 0DF2A91C
	v_mfma_f32_16x16x32_fp8_fp8 v[124:127], a[30:31], v[86:87], v[124:127]// 000000007A0C: D3F3007C 0DF2AD1E
	v_mfma_f32_16x16x32_fp8_fp8 v[128:131], a[0:1], v[88:89], 0// 000000007A14: D3F30080 0A02B100
	v_mfma_f32_16x16x32_fp8_fp8 v[128:131], a[2:3], v[90:91], v[128:131]// 000000007A1C: D3F30080 0E02B502
	v_mfma_f32_16x16x32_fp8_fp8 v[128:131], a[4:5], v[92:93], v[128:131]// 000000007A24: D3F30080 0E02B904
	v_mfma_f32_16x16x32_fp8_fp8 v[128:131], a[6:7], v[94:95], v[128:131]// 000000007A2C: D3F30080 0E02BD06
	v_mfma_f32_16x16x32_fp8_fp8 v[132:135], a[8:9], v[88:89], 0// 000000007A34: D3F30084 0A02B108
	v_mfma_f32_16x16x32_fp8_fp8 v[132:135], a[10:11], v[90:91], v[132:135]// 000000007A3C: D3F30084 0E12B50A
	v_mfma_f32_16x16x32_fp8_fp8 v[132:135], a[12:13], v[92:93], v[132:135]// 000000007A44: D3F30084 0E12B90C
	v_mfma_f32_16x16x32_fp8_fp8 v[132:135], a[14:15], v[94:95], v[132:135]// 000000007A4C: D3F30084 0E12BD0E
	v_mfma_f32_16x16x32_fp8_fp8 v[136:139], a[16:17], v[88:89], 0// 000000007A54: D3F30088 0A02B110
	v_mfma_f32_16x16x32_fp8_fp8 v[136:139], a[18:19], v[90:91], v[136:139]// 000000007A5C: D3F30088 0E22B512
	v_mfma_f32_16x16x32_fp8_fp8 v[136:139], a[20:21], v[92:93], v[136:139]// 000000007A64: D3F30088 0E22B914
	v_mfma_f32_16x16x32_fp8_fp8 v[136:139], a[22:23], v[94:95], v[136:139]// 000000007A6C: D3F30088 0E22BD16
	v_mfma_f32_16x16x32_fp8_fp8 v[140:143], a[24:25], v[88:89], 0// 000000007A74: D3F3008C 0A02B118
	v_mfma_f32_16x16x32_fp8_fp8 v[140:143], a[26:27], v[90:91], v[140:143]// 000000007A7C: D3F3008C 0E32B51A
	v_mfma_f32_16x16x32_fp8_fp8 v[140:143], a[28:29], v[92:93], v[140:143]// 000000007A84: D3F3008C 0E32B91C
	v_mfma_f32_16x16x32_fp8_fp8 v[140:143], a[30:31], v[94:95], v[140:143]// 000000007A8C: D3F3008C 0E32BD1E
	buffer_load_dword v43, v3, s[32:35], 0 offen               // 000000007A94: E0501000 80082B03
	v_mov_b32_dpp v64, v42 row_shr:4 row_mask:0xf bank_mask:0xf// 000000007A9C: 7E8002FA FF01142A
	v_mov_b32_dpp v65, v42 row_shl:4 row_mask:0xf bank_mask:0xf// 000000007AA4: 7E8202FA FF01042A
	v_cndmask_b32_e64 v248, v42, v64, s[44:45]                 // 000000007AAC: D10000F8 00B2812A
	v_cndmask_b32_e64 v249, v65, v42, s[44:45]                 // 000000007AB4: D10000F9 00B25541
	v_mov_b32_dpp v64, v248 row_shr:8 row_mask:0xf bank_mask:0xf// 000000007ABC: 7E8002FA FF0118F8
	v_mov_b32_dpp v65, v248 row_shl:8 row_mask:0xf bank_mask:0xf// 000000007AC4: 7E8202FA FF0108F8
	v_mov_b32_dpp v66, v249 row_shr:8 row_mask:0xf bank_mask:0xf// 000000007ACC: 7E8402FA FF0118F9
	v_mov_b32_dpp v67, v249 row_shl:8 row_mask:0xf bank_mask:0xf// 000000007AD4: 7E8602FA FF0108F9
	v_mov_b32_e32 v68, v248                                    // 000000007ADC: 7E8803F8
	v_mov_b32_e32 v69, v249                                    // 000000007AE0: 7E8A03F9
	v_cndmask_b32_e64 v248, v68, v64, s[42:43]                 // 000000007AE4: D10000F8 00AA8144
	v_cndmask_b32_e64 v250, v68, v65, s[78:79]                 // 000000007AEC: D10000FA 013A8344
	v_cndmask_b32_e64 v249, v69, v66, s[42:43]                 // 000000007AF4: D10000F9 00AA8545
	v_cndmask_b32_e64 v251, v69, v67, s[78:79]                 // 000000007AFC: D10000FB 013A8745
	v_mov_b32_dpp v64, v57 row_shr:4 row_mask:0xf bank_mask:0xf// 000000007B04: 7E8002FA FF011439
	v_mov_b32_dpp v65, v57 row_shl:4 row_mask:0xf bank_mask:0xf// 000000007B0C: 7E8202FA FF010439
	v_cndmask_b32_e64 v252, v57, v64, s[44:45]                 // 000000007B14: D10000FC 00B28139
	v_cndmask_b32_e64 v253, v65, v57, s[44:45]                 // 000000007B1C: D10000FD 00B27341
	v_mov_b32_dpp v64, v252 row_shr:8 row_mask:0xf bank_mask:0xf// 000000007B24: 7E8002FA FF0118FC
	v_mov_b32_dpp v65, v252 row_shl:8 row_mask:0xf bank_mask:0xf// 000000007B2C: 7E8202FA FF0108FC
	v_mov_b32_dpp v66, v253 row_shr:8 row_mask:0xf bank_mask:0xf// 000000007B34: 7E8402FA FF0118FD
	v_mov_b32_dpp v67, v253 row_shl:8 row_mask:0xf bank_mask:0xf// 000000007B3C: 7E8602FA FF0108FD
	v_mov_b32_e32 v68, v252                                    // 000000007B44: 7E8803FC
	v_mov_b32_e32 v69, v253                                    // 000000007B48: 7E8A03FD
	v_cndmask_b32_e64 v252, v68, v64, s[42:43]                 // 000000007B4C: D10000FC 00AA8144
	v_cndmask_b32_e64 v254, v68, v65, s[78:79]                 // 000000007B54: D10000FE 013A8344
	v_cndmask_b32_e64 v253, v69, v66, s[42:43]                 // 000000007B5C: D10000FD 00AA8545
	v_cndmask_b32_e64 v255, v69, v67, s[78:79]                 // 000000007B64: D10000FF 013A8745
	buffer_load_dword v58, v56, s[36:39], 0 offen              // 000000007B6C: E0501000 80093A38
	v_mul_f32_e32 v112, v18, v112                              // 000000007B74: 0AE0E112
	v_mul_f32_e32 v113, v18, v113                              // 000000007B78: 0AE2E312
	v_mul_f32_e32 v114, v18, v114                              // 000000007B7C: 0AE4E512
	v_mul_f32_e32 v115, v18, v115                              // 000000007B80: 0AE6E712
	v_mul_f32_e32 v116, v18, v116                              // 000000007B84: 0AE8E912
	v_mul_f32_e32 v117, v18, v117                              // 000000007B88: 0AEAEB12
	v_mul_f32_e32 v118, v18, v118                              // 000000007B8C: 0AECED12
	v_mul_f32_e32 v119, v18, v119                              // 000000007B90: 0AEEEF12
	v_mul_f32_e32 v120, v18, v120                              // 000000007B94: 0AF0F112
	v_mul_f32_e32 v121, v18, v121                              // 000000007B98: 0AF2F312
	v_mul_f32_e32 v122, v18, v122                              // 000000007B9C: 0AF4F512
	v_mul_f32_e32 v123, v18, v123                              // 000000007BA0: 0AF6F712
	v_mul_f32_e32 v124, v18, v124                              // 000000007BA4: 0AF8F912
	v_mul_f32_e32 v125, v18, v125                              // 000000007BA8: 0AFAFB12
	v_mul_f32_e32 v126, v18, v126                              // 000000007BAC: 0AFCFD12
	v_mul_f32_e32 v127, v18, v127                              // 000000007BB0: 0AFEFF12
	buffer_load_dwordx4 a[48:51], v28, s[16:19], 0 offen       // 000000007BB4: E05C1000 8084301C
	v_mul_f32_dpp v112, v248, v112 quad_perm:[0,0,0,0] row_mask:0xf bank_mask:0xf// 000000007BBC: 0AE0E0FA FF0000F8
	v_mul_f32_dpp v113, v248, v113 quad_perm:[1,1,1,1] row_mask:0xf bank_mask:0xf// 000000007BC4: 0AE2E2FA FF0055F8
	v_mul_f32_dpp v114, v248, v114 quad_perm:[2,2,2,2] row_mask:0xf bank_mask:0xf// 000000007BCC: 0AE4E4FA FF00AAF8
	v_mul_f32_dpp v115, v248, v115 quad_perm:[3,3,3,3] row_mask:0xf bank_mask:0xf// 000000007BD4: 0AE6E6FA FF00FFF8
	v_mul_f32_dpp v116, v249, v116 quad_perm:[0,0,0,0] row_mask:0xf bank_mask:0xf// 000000007BDC: 0AE8E8FA FF0000F9
	v_mul_f32_dpp v117, v249, v117 quad_perm:[1,1,1,1] row_mask:0xf bank_mask:0xf// 000000007BE4: 0AEAEAFA FF0055F9
	v_mul_f32_dpp v118, v249, v118 quad_perm:[2,2,2,2] row_mask:0xf bank_mask:0xf// 000000007BEC: 0AECECFA FF00AAF9
	v_mul_f32_dpp v119, v249, v119 quad_perm:[3,3,3,3] row_mask:0xf bank_mask:0xf// 000000007BF4: 0AEEEEFA FF00FFF9
	v_mul_f32_dpp v120, v250, v120 quad_perm:[0,0,0,0] row_mask:0xf bank_mask:0xf// 000000007BFC: 0AF0F0FA FF0000FA
	v_mul_f32_dpp v121, v250, v121 quad_perm:[1,1,1,1] row_mask:0xf bank_mask:0xf// 000000007C04: 0AF2F2FA FF0055FA
	v_mul_f32_dpp v122, v250, v122 quad_perm:[2,2,2,2] row_mask:0xf bank_mask:0xf// 000000007C0C: 0AF4F4FA FF00AAFA
	v_mul_f32_dpp v123, v250, v123 quad_perm:[3,3,3,3] row_mask:0xf bank_mask:0xf// 000000007C14: 0AF6F6FA FF00FFFA
	v_mul_f32_dpp v124, v251, v124 quad_perm:[0,0,0,0] row_mask:0xf bank_mask:0xf// 000000007C1C: 0AF8F8FA FF0000FB
	v_mul_f32_dpp v125, v251, v125 quad_perm:[1,1,1,1] row_mask:0xf bank_mask:0xf// 000000007C24: 0AFAFAFA FF0055FB
	v_mul_f32_dpp v126, v251, v126 quad_perm:[2,2,2,2] row_mask:0xf bank_mask:0xf// 000000007C2C: 0AFCFCFA FF00AAFB
	v_mul_f32_dpp v127, v251, v127 quad_perm:[3,3,3,3] row_mask:0xf bank_mask:0xf// 000000007C34: 0AFEFEFA FF00FFFB
	buffer_load_dwordx4 a[52:55], v28, s[16:19], 0 offen offset:1024// 000000007C3C: E05C1400 8084341C
	s_cmp_le_i32 s90, s89                                      // 000000007C44: BF05595A
	s_cbranch_scc1 label_1704                                  // 000000007C48: BF850071
	v_mov_b32_e32 v66, 0xff800000                              // 000000007C4C: 7E8402FF FF800000
	s_mov_b32 s60, s90                                         // 000000007C54: BEBC005A
	s_add_u32 s61, s89, 0xff                                   // 000000007C58: 803DFF59 000000FF
	v_mov_b32_e32 v64, s61                                     // 000000007C60: 7E80023D
	v_lshrrev_b32_e32 v240, 4, v0                              // 000000007C64: 21E00084
	v_mul_i32_i24_e32 v240, 4, v240                            // 000000007C68: 0DE1E084
	v_add_u32_e32 v240, s60, v240                              // 000000007C6C: 69E1E03C
	s_mov_b32 s61, 0                                           // 000000007C70: BEBD0080
	s_mul_i32 s60, 16, s7                                      // 000000007C74: 923C0790
	v_sub_u32_e64 v240, v240, s61                              // 000000007C78: D13500F0 00007BF0
	v_add_u32_e32 v240, s60, v240                              // 000000007C80: 69E1E03C
	v_add_u32_e32 v241, 1, v240                                // 000000007C84: 69E3E081
	v_add_u32_e32 v242, 2, v240                                // 000000007C88: 69E5E082
	v_add_u32_e32 v243, 3, v240                                // 000000007C8C: 69E7E083
	v_cmp_le_u32_e64 s[40:41], v240, v64                       // 000000007C90: D0CB0028 000281F0
	v_add_u32_e32 v240, 64, v240                               // 000000007C98: 69E1E0C0
	s_nop 0                                                    // 000000007C9C: BF800000
	v_cndmask_b32_e64 v112, v66, v112, s[40:41]                // 000000007CA0: D1000070 00A2E142
	v_cmp_le_u32_e64 s[40:41], v241, v64                       // 000000007CA8: D0CB0028 000281F1
	v_add_u32_e32 v241, 64, v241                               // 000000007CB0: 69E3E2C0
	s_nop 0                                                    // 000000007CB4: BF800000
	v_cndmask_b32_e64 v113, v66, v113, s[40:41]                // 000000007CB8: D1000071 00A2E342
	v_cmp_le_u32_e64 s[40:41], v242, v64                       // 000000007CC0: D0CB0028 000281F2
	v_add_u32_e32 v242, 64, v242                               // 000000007CC8: 69E5E4C0
	s_nop 0                                                    // 000000007CCC: BF800000
	v_cndmask_b32_e64 v114, v66, v114, s[40:41]                // 000000007CD0: D1000072 00A2E542
	v_cmp_le_u32_e64 s[40:41], v243, v64                       // 000000007CD8: D0CB0028 000281F3
	v_add_u32_e32 v243, 64, v243                               // 000000007CE0: 69E7E6C0
	s_nop 0                                                    // 000000007CE4: BF800000
	v_cndmask_b32_e64 v115, v66, v115, s[40:41]                // 000000007CE8: D1000073 00A2E742
	v_cmp_le_u32_e64 s[40:41], v240, v64                       // 000000007CF0: D0CB0028 000281F0
	v_add_u32_e32 v240, 64, v240                               // 000000007CF8: 69E1E0C0
	s_nop 0                                                    // 000000007CFC: BF800000
	v_cndmask_b32_e64 v116, v66, v116, s[40:41]                // 000000007D00: D1000074 00A2E942
	v_cmp_le_u32_e64 s[40:41], v241, v64                       // 000000007D08: D0CB0028 000281F1
	v_add_u32_e32 v241, 64, v241                               // 000000007D10: 69E3E2C0
	s_nop 0                                                    // 000000007D14: BF800000
	v_cndmask_b32_e64 v117, v66, v117, s[40:41]                // 000000007D18: D1000075 00A2EB42
	v_cmp_le_u32_e64 s[40:41], v242, v64                       // 000000007D20: D0CB0028 000281F2
	v_add_u32_e32 v242, 64, v242                               // 000000007D28: 69E5E4C0
	s_nop 0                                                    // 000000007D2C: BF800000
	v_cndmask_b32_e64 v118, v66, v118, s[40:41]                // 000000007D30: D1000076 00A2ED42
	v_cmp_le_u32_e64 s[40:41], v243, v64                       // 000000007D38: D0CB0028 000281F3
	v_add_u32_e32 v243, 64, v243                               // 000000007D40: 69E7E6C0
	s_nop 0                                                    // 000000007D44: BF800000
	v_cndmask_b32_e64 v119, v66, v119, s[40:41]                // 000000007D48: D1000077 00A2EF42
	v_cmp_le_u32_e64 s[40:41], v240, v64                       // 000000007D50: D0CB0028 000281F0
	v_add_u32_e32 v240, 64, v240                               // 000000007D58: 69E1E0C0
	s_nop 0                                                    // 000000007D5C: BF800000
	v_cndmask_b32_e64 v120, v66, v120, s[40:41]                // 000000007D60: D1000078 00A2F142
	v_cmp_le_u32_e64 s[40:41], v241, v64                       // 000000007D68: D0CB0028 000281F1
	v_add_u32_e32 v241, 64, v241                               // 000000007D70: 69E3E2C0
	s_nop 0                                                    // 000000007D74: BF800000
	v_cndmask_b32_e64 v121, v66, v121, s[40:41]                // 000000007D78: D1000079 00A2F342
	v_cmp_le_u32_e64 s[40:41], v242, v64                       // 000000007D80: D0CB0028 000281F2
	v_add_u32_e32 v242, 64, v242                               // 000000007D88: 69E5E4C0
	s_nop 0                                                    // 000000007D8C: BF800000
	v_cndmask_b32_e64 v122, v66, v122, s[40:41]                // 000000007D90: D100007A 00A2F542
	v_cmp_le_u32_e64 s[40:41], v243, v64                       // 000000007D98: D0CB0028 000281F3
	v_add_u32_e32 v243, 64, v243                               // 000000007DA0: 69E7E6C0
	s_nop 0                                                    // 000000007DA4: BF800000
	v_cndmask_b32_e64 v123, v66, v123, s[40:41]                // 000000007DA8: D100007B 00A2F742
	v_cmp_le_u32_e64 s[40:41], v240, v64                       // 000000007DB0: D0CB0028 000281F0
	v_add_u32_e32 v240, 64, v240                               // 000000007DB8: 69E1E0C0
	s_nop 0                                                    // 000000007DBC: BF800000
	v_cndmask_b32_e64 v124, v66, v124, s[40:41]                // 000000007DC0: D100007C 00A2F942
	v_cmp_le_u32_e64 s[40:41], v241, v64                       // 000000007DC8: D0CB0028 000281F1
	v_add_u32_e32 v241, 64, v241                               // 000000007DD0: 69E3E2C0
	s_nop 0                                                    // 000000007DD4: BF800000
	v_cndmask_b32_e64 v125, v66, v125, s[40:41]                // 000000007DD8: D100007D 00A2FB42
	v_cmp_le_u32_e64 s[40:41], v242, v64                       // 000000007DE0: D0CB0028 000281F2
	v_add_u32_e32 v242, 64, v242                               // 000000007DE8: 69E5E4C0
	s_nop 0                                                    // 000000007DEC: BF800000
	v_cndmask_b32_e64 v126, v66, v126, s[40:41]                // 000000007DF0: D100007E 00A2FD42
	v_cmp_le_u32_e64 s[40:41], v243, v64                       // 000000007DF8: D0CB0028 000281F3
	v_add_u32_e32 v243, 64, v243                               // 000000007E00: 69E7E6C0
	s_nop 0                                                    // 000000007E04: BF800000
	v_cndmask_b32_e64 v127, v66, v127, s[40:41]                // 000000007E08: D100007F 00A2FF42

0000000000007e10 <label_1704>:
	v_mov_b32_e32 v48, v112                                    // 000000007E10: 7E600370
	v_max3_f32 v48, v112, v113, v48                            // 000000007E14: D1D30030 04C2E370
	v_max3_f32 v48, v114, v115, v48                            // 000000007E1C: D1D30030 04C2E772
	v_max3_f32 v48, v116, v117, v48                            // 000000007E24: D1D30030 04C2EB74
	v_max3_f32 v48, v118, v119, v48                            // 000000007E2C: D1D30030 04C2EF76
	v_max3_f32 v48, v120, v121, v48                            // 000000007E34: D1D30030 04C2F378
	v_max3_f32 v48, v122, v123, v48                            // 000000007E3C: D1D30030 04C2F77A
	v_max3_f32 v48, v124, v125, v48                            // 000000007E44: D1D30030 04C2FB7C
	v_max3_f32 v48, v126, v127, v48                            // 000000007E4C: D1D30030 04C2FF7E
	ds_write_b32 v8, v48 offset:16896                          // 000000007E54: D81A4200 00003008
	buffer_load_dwordx4 a[56:59], v29, s[16:19], 0 offen       // 000000007E5C: E05C1000 8084381D
	v_mul_u32_u24_dpp v64, v17, v54 row_newbcast:1 row_mask:0xf bank_mask:0xf// 000000007E64: 10806CFA FF015111
	v_mul_u32_u24_dpp v65, v17, v54 row_newbcast:5 row_mask:0xf bank_mask:0xf// 000000007E6C: 10826CFA FF015511
	v_mul_u32_u24_dpp v66, v17, v54 row_newbcast:9 row_mask:0xf bank_mask:0xf// 000000007E74: 10846CFA FF015911
	v_mul_u32_u24_dpp v67, v17, v54 row_newbcast:13 row_mask:0xf bank_mask:0xf// 000000007E7C: 10866CFA FF015D11
	v_add_u32_e32 v34, v64, v6                                 // 000000007E84: 68440D40
	v_add_u32_e32 v35, v65, v6                                 // 000000007E88: 68460D41
	v_add_u32_e32 v36, v66, v6                                 // 000000007E8C: 68480D42
	v_add_u32_e32 v37, v67, v6                                 // 000000007E90: 684A0D43
	v_mul_f32_e32 v208, v49, v208                              // 000000007E94: 0BA1A131
	v_mul_f32_e32 v209, v49, v209                              // 000000007E98: 0BA3A331
	v_mul_f32_e32 v210, v49, v210                              // 000000007E9C: 0BA5A531
	v_mul_f32_e32 v211, v49, v211                              // 000000007EA0: 0BA7A731
	v_mul_f32_e32 v212, v49, v212                              // 000000007EA4: 0BA9A931
	v_mul_f32_e32 v213, v49, v213                              // 000000007EA8: 0BABAB31
	v_mul_f32_e32 v214, v49, v214                              // 000000007EAC: 0BADAD31
	v_mul_f32_e32 v215, v49, v215                              // 000000007EB0: 0BAFAF31
	s_waitcnt lgkmcnt(0)                                       // 000000007EB4: BF8CC07F
	s_barrier                                                  // 000000007EB8: BF8A0000
	ds_read_b32 v64, v7 offset:16896                           // 000000007EBC: D86C4200 40000007
	ds_read_b32 v65, v7 offset:16960                           // 000000007EC4: D86C4240 41000007
	ds_read_b32 v66, v7 offset:17024                           // 000000007ECC: D86C4280 42000007
	ds_read_b32 v67, v7 offset:17088                           // 000000007ED4: D86C42C0 43000007
	ds_read_b32 v68, v7 offset:17152                           // 000000007EDC: D86C4300 44000007
	ds_read_b32 v69, v7 offset:17216                           // 000000007EE4: D86C4340 45000007
	ds_read_b32 v70, v7 offset:17280                           // 000000007EEC: D86C4380 46000007
	ds_read_b32 v71, v7 offset:17344                           // 000000007EF4: D86C43C0 47000007
	ds_read_b32 v72, v7 offset:17408                           // 000000007EFC: D86C4400 48000007
	ds_read_b32 v73, v7 offset:17472                           // 000000007F04: D86C4440 49000007
	ds_read_b32 v74, v7 offset:17536                           // 000000007F0C: D86C4480 4A000007
	ds_read_b32 v75, v7 offset:17600                           // 000000007F14: D86C44C0 4B000007
	ds_read_b32 v76, v7 offset:17664                           // 000000007F1C: D86C4500 4C000007
	ds_read_b32 v77, v7 offset:17728                           // 000000007F24: D86C4540 4D000007
	ds_read_b32 v78, v7 offset:17792                           // 000000007F2C: D86C4580 4E000007
	ds_read_b32 v79, v7 offset:17856                           // 000000007F34: D86C45C0 4F000007
	buffer_load_dwordx4 a[60:63], v29, s[16:19], 0 offen offset:1024// 000000007F3C: E05C1400 80843C1D
	v_mul_f32_e32 v176, v44, v176                              // 000000007F44: 0B61612C
	v_mul_f32_e32 v177, v44, v177                              // 000000007F48: 0B63632C
	v_mul_f32_e32 v178, v44, v178                              // 000000007F4C: 0B65652C
	v_mul_f32_e32 v179, v44, v179                              // 000000007F50: 0B67672C
	v_mul_f32_e32 v180, v44, v180                              // 000000007F54: 0B69692C
	v_mul_f32_e32 v181, v44, v181                              // 000000007F58: 0B6B6B2C
	v_mul_f32_e32 v182, v44, v182                              // 000000007F5C: 0B6D6D2C
	v_mul_f32_e32 v183, v44, v183                              // 000000007F60: 0B6F6F2C
	s_waitcnt lgkmcnt(0)                                       // 000000007F64: BF8CC07F
	v_max3_f32 v48, v64, v65, v48                              // 000000007F68: D1D30030 04C28340
	v_max3_f32 v48, v66, v67, v48                              // 000000007F70: D1D30030 04C28742
	v_max3_f32 v48, v68, v69, v48                              // 000000007F78: D1D30030 04C28B44
	v_max3_f32 v48, v70, v71, v48                              // 000000007F80: D1D30030 04C28F46
	v_max3_f32 v48, v72, v73, v48                              // 000000007F88: D1D30030 04C29348
	v_max3_f32 v48, v74, v75, v48                              // 000000007F90: D1D30030 04C2974A
	v_max3_f32 v48, v76, v77, v48                              // 000000007F98: D1D30030 04C29B4C
	v_max3_f32 v48, v78, v79, v48                              // 000000007FA0: D1D30030 04C29F4E
	buffer_load_dwordx4 a[96:99], v34, s[20:23], 0 offen       // 000000007FA8: E05C1000 80856022
	v_mov_b32_e32 v64, 0xff800000                              // 000000007FB0: 7E8002FF FF800000
	v_cmp_eq_u32_e64 s[40:41], v64, v11                        // 000000007FB8: D0CA0028 00021740
	s_nop 1                                                    // 000000007FC0: BF800001
	v_max_f32_e32 v15, v48, v11                                // 000000007FC4: 161E1730
	v_mul_f32_e32 v53, s64, v15                                // 000000007FC8: 0A6A1E40
	v_fma_f32 v112, v112, s64, -v53                            // 000000007FCC: D1CB0070 84D48170
	v_fma_f32 v113, v113, s64, -v53                            // 000000007FD4: D1CB0071 84D48171
	v_fma_f32 v114, v114, s64, -v53                            // 000000007FDC: D1CB0072 84D48172
	v_fma_f32 v115, v115, s64, -v53                            // 000000007FE4: D1CB0073 84D48173
	v_fma_f32 v116, v116, s64, -v53                            // 000000007FEC: D1CB0074 84D48174
	v_fma_f32 v117, v117, s64, -v53                            // 000000007FF4: D1CB0075 84D48175
	v_fma_f32 v118, v118, s64, -v53                            // 000000007FFC: D1CB0076 84D48176
	v_fma_f32 v119, v119, s64, -v53                            // 000000008004: D1CB0077 84D48177
	v_fma_f32 v120, v120, s64, -v53                            // 00000000800C: D1CB0078 84D48178
	v_fma_f32 v121, v121, s64, -v53                            // 000000008014: D1CB0079 84D48179
	v_fma_f32 v122, v122, s64, -v53                            // 00000000801C: D1CB007A 84D4817A
	v_fma_f32 v123, v123, s64, -v53                            // 000000008024: D1CB007B 84D4817B
	v_fma_f32 v124, v124, s64, -v53                            // 00000000802C: D1CB007C 84D4817C
	v_fma_f32 v125, v125, s64, -v53                            // 000000008034: D1CB007D 84D4817D
	v_fma_f32 v126, v126, s64, -v53                            // 00000000803C: D1CB007E 84D4817E
	v_fma_f32 v127, v127, s64, -v53                            // 000000008044: D1CB007F 84D4817F
	buffer_load_dwordx4 a[100:103], v35, s[20:23], 0 offen     // 00000000804C: E05C1000 80856423
	v_exp_f32_e32 v112, v112                                   // 000000008054: 7EE04170
	v_exp_f32_e32 v113, v113                                   // 000000008058: 7EE24171
	v_exp_f32_e32 v114, v114                                   // 00000000805C: 7EE44172
	v_exp_f32_e32 v115, v115                                   // 000000008060: 7EE64173
	v_exp_f32_e32 v116, v116                                   // 000000008064: 7EE84174
	v_exp_f32_e32 v117, v117                                   // 000000008068: 7EEA4175
	v_exp_f32_e32 v118, v118                                   // 00000000806C: 7EEC4176
	v_exp_f32_e32 v119, v119                                   // 000000008070: 7EEE4177
	v_exp_f32_e32 v120, v120                                   // 000000008074: 7EF04178
	v_exp_f32_e32 v121, v121                                   // 000000008078: 7EF24179
	v_exp_f32_e32 v122, v122                                   // 00000000807C: 7EF4417A
	v_exp_f32_e32 v123, v123                                   // 000000008080: 7EF6417B
	v_exp_f32_e32 v124, v124                                   // 000000008084: 7EF8417C
	v_exp_f32_e32 v125, v125                                   // 000000008088: 7EFA417D
	v_exp_f32_e32 v126, v126                                   // 00000000808C: 7EFC417E
	v_exp_f32_e32 v127, v127                                   // 000000008090: 7EFE417F
	buffer_load_dwordx4 a[104:107], v36, s[20:23], 0 offen     // 000000008094: E05C1000 80856824
	v_mul_f32_dpp v240, v252, v112 quad_perm:[0,0,0,0] row_mask:0xf bank_mask:0xf// 00000000809C: 0BE0E0FA FF0000FC
	v_mul_f32_dpp v241, v252, v113 quad_perm:[1,1,1,1] row_mask:0xf bank_mask:0xf// 0000000080A4: 0BE2E2FA FF0055FC
	v_mul_f32_dpp v242, v252, v114 quad_perm:[2,2,2,2] row_mask:0xf bank_mask:0xf// 0000000080AC: 0BE4E4FA FF00AAFC
	v_mul_f32_dpp v243, v252, v115 quad_perm:[3,3,3,3] row_mask:0xf bank_mask:0xf// 0000000080B4: 0BE6E6FA FF00FFFC
	v_mul_f32_dpp v244, v253, v116 quad_perm:[0,0,0,0] row_mask:0xf bank_mask:0xf// 0000000080BC: 0BE8E8FA FF0000FD
	v_mul_f32_dpp v245, v253, v117 quad_perm:[1,1,1,1] row_mask:0xf bank_mask:0xf// 0000000080C4: 0BEAEAFA FF0055FD
	v_mul_f32_dpp v246, v253, v118 quad_perm:[2,2,2,2] row_mask:0xf bank_mask:0xf// 0000000080CC: 0BECECFA FF00AAFD
	v_mul_f32_dpp v247, v253, v119 quad_perm:[3,3,3,3] row_mask:0xf bank_mask:0xf// 0000000080D4: 0BEEEEFA FF00FFFD
	v_mul_f32_dpp v248, v254, v120 quad_perm:[0,0,0,0] row_mask:0xf bank_mask:0xf// 0000000080DC: 0BF0F0FA FF0000FE
	v_mul_f32_dpp v249, v254, v121 quad_perm:[1,1,1,1] row_mask:0xf bank_mask:0xf// 0000000080E4: 0BF2F2FA FF0055FE
	v_mul_f32_dpp v250, v254, v122 quad_perm:[2,2,2,2] row_mask:0xf bank_mask:0xf// 0000000080EC: 0BF4F4FA FF00AAFE
	v_mul_f32_dpp v251, v254, v123 quad_perm:[3,3,3,3] row_mask:0xf bank_mask:0xf// 0000000080F4: 0BF6F6FA FF00FFFE
	v_mul_f32_dpp v252, v255, v124 quad_perm:[0,0,0,0] row_mask:0xf bank_mask:0xf// 0000000080FC: 0BF8F8FA FF0000FF
	v_mul_f32_dpp v253, v255, v125 quad_perm:[1,1,1,1] row_mask:0xf bank_mask:0xf// 000000008104: 0BFAFAFA FF0055FF
	v_mul_f32_dpp v254, v255, v126 quad_perm:[2,2,2,2] row_mask:0xf bank_mask:0xf// 00000000810C: 0BFCFCFA FF00AAFF
	v_mul_f32_dpp v255, v255, v127 quad_perm:[3,3,3,3] row_mask:0xf bank_mask:0xf// 000000008114: 0BFEFEFA FF00FFFF
	v_mov_b32_e32 v48, 0x358637bd                              // 00000000811C: 7E6002FF 358637BD
	v_max3_f32 v48, |v240|, |v241|, v48                        // 000000008124: D1D30330 04C3E3F0
	v_max3_f32 v48, |v242|, |v243|, v48                        // 00000000812C: D1D30330 04C3E7F2
	v_max3_f32 v48, |v244|, |v245|, v48                        // 000000008134: D1D30330 04C3EBF4
	v_max3_f32 v48, |v246|, |v247|, v48                        // 00000000813C: D1D30330 04C3EFF6
	v_max3_f32 v48, |v248|, |v249|, v48                        // 000000008144: D1D30330 04C3F3F8
	v_max3_f32 v48, |v250|, |v251|, v48                        // 00000000814C: D1D30330 04C3F7FA
	v_max3_f32 v48, |v252|, |v253|, v48                        // 000000008154: D1D30330 04C3FBFC
	v_max3_f32 v48, |v254|, |v255|, v48                        // 00000000815C: D1D30330 04C3FFFE
	buffer_load_dwordx4 a[108:111], v37, s[20:23], 0 offen     // 000000008164: E05C1000 80856C25
	ds_write_b32 v8, v48 offset:20992                          // 00000000816C: D81A5200 00003008
	v_sub_f32_e32 v49, v11, v15                                // 000000008174: 04621F0B
	v_cndmask_b32_e64 v49, v49, 0, s[40:41]                    // 000000008178: D1000031 00A10131
	v_mov_b32_e32 v11, v15                                     // 000000008180: 7E16030F
	v_mul_f32_e32 v49, s64, v49                                // 000000008184: 0A626240
	v_exp_f32_e32 v49, v49                                     // 000000008188: 7E624131
	s_waitcnt lgkmcnt(0)                                       // 00000000818C: BF8CC07F
	s_barrier                                                  // 000000008190: BF8A0000
	ds_read_b32 v64, v7 offset:20992                           // 000000008194: D86C5200 40000007
	ds_read_b32 v65, v7 offset:21056                           // 00000000819C: D86C5240 41000007
	ds_read_b32 v66, v7 offset:21120                           // 0000000081A4: D86C5280 42000007
	ds_read_b32 v67, v7 offset:21184                           // 0000000081AC: D86C52C0 43000007
	ds_read_b32 v68, v7 offset:21248                           // 0000000081B4: D86C5300 44000007
	ds_read_b32 v69, v7 offset:21312                           // 0000000081BC: D86C5340 45000007
	ds_read_b32 v70, v7 offset:21376                           // 0000000081C4: D86C5380 46000007
	ds_read_b32 v71, v7 offset:21440                           // 0000000081CC: D86C53C0 47000007
	ds_read_b32 v72, v7 offset:21504                           // 0000000081D4: D86C5400 48000007
	ds_read_b32 v73, v7 offset:21568                           // 0000000081DC: D86C5440 49000007
	ds_read_b32 v74, v7 offset:21632                           // 0000000081E4: D86C5480 4A000007
	ds_read_b32 v75, v7 offset:21696                           // 0000000081EC: D86C54C0 4B000007
	ds_read_b32 v76, v7 offset:21760                           // 0000000081F4: D86C5500 4C000007
	ds_read_b32 v77, v7 offset:21824                           // 0000000081FC: D86C5540 4D000007
	ds_read_b32 v78, v7 offset:21888                           // 000000008204: D86C5580 4E000007
	ds_read_b32 v79, v7 offset:21952                           // 00000000820C: D86C55C0 4F000007
	v_mul_f32_e32 v38, v49, v38                                // 000000008214: 0A4C4D31
	v_mov_b32_e32 v15, v112                                    // 000000008218: 7E1E0370
	v_add_f32_e32 v15, v113, v15                               // 00000000821C: 021E1F71
	v_add_f32_e32 v15, v114, v15                               // 000000008220: 021E1F72
	v_add_f32_e32 v15, v115, v15                               // 000000008224: 021E1F73
	v_add_f32_e32 v15, v116, v15                               // 000000008228: 021E1F74
	v_add_f32_e32 v15, v117, v15                               // 00000000822C: 021E1F75
	v_add_f32_e32 v15, v118, v15                               // 000000008230: 021E1F76
	v_add_f32_e32 v15, v119, v15                               // 000000008234: 021E1F77
	v_add_f32_e32 v15, v120, v15                               // 000000008238: 021E1F78
	v_add_f32_e32 v15, v121, v15                               // 00000000823C: 021E1F79
	v_add_f32_e32 v15, v122, v15                               // 000000008240: 021E1F7A
	v_add_f32_e32 v15, v123, v15                               // 000000008244: 021E1F7B
	v_add_f32_e32 v15, v124, v15                               // 000000008248: 021E1F7C
	v_add_f32_e32 v15, v125, v15                               // 00000000824C: 021E1F7D
	v_add_f32_e32 v15, v126, v15                               // 000000008250: 021E1F7E
	v_add_f32_e32 v15, v127, v15                               // 000000008254: 021E1F7F
	v_add_f32_e32 v38, v15, v38                                // 000000008258: 024C4D0F
	s_waitcnt lgkmcnt(0)                                       // 00000000825C: BF8CC07F
	v_max3_f32 v48, |v64|, |v65|, v48                          // 000000008260: D1D30330 04C28340
	v_max3_f32 v48, |v66|, |v67|, v48                          // 000000008268: D1D30330 04C28742
	v_max3_f32 v48, |v68|, |v69|, v48                          // 000000008270: D1D30330 04C28B44
	v_max3_f32 v48, |v70|, |v71|, v48                          // 000000008278: D1D30330 04C28F46
	v_max3_f32 v48, |v72|, |v73|, v48                          // 000000008280: D1D30330 04C29348
	v_max3_f32 v48, |v74|, |v75|, v48                          // 000000008288: D1D30330 04C2974A
	v_max3_f32 v48, |v76|, |v77|, v48                          // 000000008290: D1D30330 04C29B4C
	v_max3_f32 v48, |v78|, |v79|, v48                          // 000000008298: D1D30330 04C29F4E
	s_nop 2                                                    // 0000000082A0: BF800002
	v_rcp_f32_e32 v48, v48                                     // 0000000082A4: 7E604530
	s_nop 1                                                    // 0000000082A8: BF800001
	v_mul_f32_e32 v48, 0x43700000, v48                         // 0000000082AC: 0A6060FF 43700000
	v_mul_f32_e32 v112, v48, v240                              // 0000000082B4: 0AE1E130
	v_mul_f32_e32 v113, v48, v241                              // 0000000082B8: 0AE3E330
	v_mul_f32_e32 v114, v48, v242                              // 0000000082BC: 0AE5E530
	v_mul_f32_e32 v115, v48, v243                              // 0000000082C0: 0AE7E730
	v_mul_f32_e32 v116, v48, v244                              // 0000000082C4: 0AE9E930
	v_mul_f32_e32 v117, v48, v245                              // 0000000082C8: 0AEBEB30
	v_mul_f32_e32 v118, v48, v246                              // 0000000082CC: 0AEDED30
	v_mul_f32_e32 v119, v48, v247                              // 0000000082D0: 0AEFEF30
	v_mul_f32_e32 v120, v48, v248                              // 0000000082D4: 0AF1F130
	v_mul_f32_e32 v121, v48, v249                              // 0000000082D8: 0AF3F330
	v_mul_f32_e32 v122, v48, v250                              // 0000000082DC: 0AF5F530
	v_mul_f32_e32 v123, v48, v251                              // 0000000082E0: 0AF7F730
	v_mul_f32_e32 v124, v48, v252                              // 0000000082E4: 0AF9F930
	v_mul_f32_e32 v125, v48, v253                              // 0000000082E8: 0AFBFB30
	v_mul_f32_e32 v126, v48, v254                              // 0000000082EC: 0AFDFD30
	v_mul_f32_e32 v127, v48, v255                              // 0000000082F0: 0AFFFF30
	v_cvt_pk_fp8_f32 v112, v112, v113                          // 0000000082F4: D2A20070 0002E370
	v_cvt_pk_fp8_f32 v112, v114, v115 op_sel:[0,0,1]           // 0000000082FC: D2A24070 0002E772
	v_cvt_pk_fp8_f32 v113, v116, v117                          // 000000008304: D2A20071 0002EB74
	v_cvt_pk_fp8_f32 v113, v118, v119 op_sel:[0,0,1]           // 00000000830C: D2A24071 0002EF76
	v_cvt_pk_fp8_f32 v114, v120, v121                          // 000000008314: D2A20072 0002F378
	v_cvt_pk_fp8_f32 v114, v122, v123 op_sel:[0,0,1]           // 00000000831C: D2A24072 0002F77A
	v_cvt_pk_fp8_f32 v115, v124, v125                          // 000000008324: D2A20073 0002FB7C
	v_cvt_pk_fp8_f32 v115, v126, v127 op_sel:[0,0,1]           // 00000000832C: D2A24073 0002FF7E
	ds_write_b32 v10, v112 offset:25088                        // 000000008334: D81A6200 0000700A
	ds_write_b32 v10, v113 offset:26112                        // 00000000833C: D81A6600 0000710A
	ds_write_b32 v10, v114 offset:27136                        // 000000008344: D81A6A00 0000720A
	ds_write_b32 v10, v115 offset:28160                        // 00000000834C: D81A6E00 0000730A
	v_add_f32_e32 v208, v208, v176                             // 000000008354: 03A161D0
	v_add_f32_e32 v209, v209, v177                             // 000000008358: 03A363D1
	v_add_f32_e32 v210, v210, v178                             // 00000000835C: 03A565D2
	v_add_f32_e32 v211, v211, v179                             // 000000008360: 03A767D3
	v_add_f32_e32 v212, v212, v180                             // 000000008364: 03A969D4
	v_add_f32_e32 v213, v213, v181                             // 000000008368: 03AB6BD5
	v_add_f32_e32 v214, v214, v182                             // 00000000836C: 03AD6DD6
	v_add_f32_e32 v215, v215, v183                             // 000000008370: 03AF6FD7
	v_rcp_f32_e32 v44, v48                                     // 000000008374: 7E584530
	s_waitcnt lgkmcnt(0)                                       // 000000008378: BF8CC07F
	s_barrier                                                  // 00000000837C: BF8A0000
	ds_read_b64 v[112:113], v9 offset:25088                    // 000000008380: D8EC6200 70000009
	ds_read_b64 v[114:115], v9 offset:25216                    // 000000008388: D8EC6280 72000009
	ds_read_b64 v[116:117], v9 offset:26112                    // 000000008390: D8EC6600 74000009
	ds_read_b64 v[118:119], v9 offset:26240                    // 000000008398: D8EC6680 76000009
	ds_read_b64 v[120:121], v9 offset:27136                    // 0000000083A0: D8EC6A00 78000009
	ds_read_b64 v[122:123], v9 offset:27264                    // 0000000083A8: D8EC6A80 7A000009
	ds_read_b64 v[124:125], v9 offset:28160                    // 0000000083B0: D8EC6E00 7C000009
	ds_read_b64 v[126:127], v9 offset:28288                    // 0000000083B8: D8EC6E80 7E000009
	v_mov_b32_dpp v64, v42 row_shr:4 row_mask:0xf bank_mask:0xf// 0000000083C0: 7E8002FA FF01142A
	v_mov_b32_dpp v65, v42 row_shl:4 row_mask:0xf bank_mask:0xf// 0000000083C8: 7E8202FA FF01042A
	v_cndmask_b32_e64 v248, v42, v64, s[44:45]                 // 0000000083D0: D10000F8 00B2812A
	v_cndmask_b32_e64 v249, v65, v42, s[44:45]                 // 0000000083D8: D10000F9 00B25541
	v_mov_b32_dpp v64, v248 row_shr:8 row_mask:0xf bank_mask:0xf// 0000000083E0: 7E8002FA FF0118F8
	v_mov_b32_dpp v65, v248 row_shl:8 row_mask:0xf bank_mask:0xf// 0000000083E8: 7E8202FA FF0108F8
	v_mov_b32_dpp v66, v249 row_shr:8 row_mask:0xf bank_mask:0xf// 0000000083F0: 7E8402FA FF0118F9
	v_mov_b32_dpp v67, v249 row_shl:8 row_mask:0xf bank_mask:0xf// 0000000083F8: 7E8602FA FF0108F9
	v_mov_b32_e32 v68, v248                                    // 000000008400: 7E8803F8
	v_mov_b32_e32 v69, v249                                    // 000000008404: 7E8A03F9
	v_cndmask_b32_e64 v248, v68, v64, s[42:43]                 // 000000008408: D10000F8 00AA8144
	v_cndmask_b32_e64 v250, v68, v65, s[78:79]                 // 000000008410: D10000FA 013A8344
	v_cndmask_b32_e64 v249, v69, v66, s[42:43]                 // 000000008418: D10000F9 00AA8545
	v_cndmask_b32_e64 v251, v69, v67, s[78:79]                 // 000000008420: D10000FB 013A8745
	v_mov_b32_dpp v64, v57 row_shr:4 row_mask:0xf bank_mask:0xf// 000000008428: 7E8002FA FF011439
	v_mov_b32_dpp v65, v57 row_shl:4 row_mask:0xf bank_mask:0xf// 000000008430: 7E8202FA FF010439
	v_cndmask_b32_e64 v252, v57, v64, s[44:45]                 // 000000008438: D10000FC 00B28139
	v_cndmask_b32_e64 v253, v65, v57, s[44:45]                 // 000000008440: D10000FD 00B27341
	v_mov_b32_dpp v64, v252 row_shr:8 row_mask:0xf bank_mask:0xf// 000000008448: 7E8002FA FF0118FC
	v_mov_b32_dpp v65, v252 row_shl:8 row_mask:0xf bank_mask:0xf// 000000008450: 7E8202FA FF0108FC
	v_mov_b32_dpp v66, v253 row_shr:8 row_mask:0xf bank_mask:0xf// 000000008458: 7E8402FA FF0118FD
	v_mov_b32_dpp v67, v253 row_shl:8 row_mask:0xf bank_mask:0xf// 000000008460: 7E8602FA FF0108FD
	v_mov_b32_e32 v68, v252                                    // 000000008468: 7E8803FC
	v_mov_b32_e32 v69, v253                                    // 00000000846C: 7E8A03FD
	v_cndmask_b32_e64 v252, v68, v64, s[42:43]                 // 000000008470: D10000FC 00AA8144
	v_cndmask_b32_e64 v254, v68, v65, s[78:79]                 // 000000008478: D10000FE 013A8344
	v_cndmask_b32_e64 v253, v69, v66, s[42:43]                 // 000000008480: D10000FD 00AA8545
	v_cndmask_b32_e64 v255, v69, v67, s[78:79]                 // 000000008488: D10000FF 013A8745
	v_mul_f32_e32 v128, v19, v128                              // 000000008490: 0B010113
	v_mul_f32_e32 v129, v19, v129                              // 000000008494: 0B030313
	v_mul_f32_e32 v130, v19, v130                              // 000000008498: 0B050513
	v_mul_f32_e32 v131, v19, v131                              // 00000000849C: 0B070713
	v_mul_f32_e32 v132, v19, v132                              // 0000000084A0: 0B090913
	v_mul_f32_e32 v133, v19, v133                              // 0000000084A4: 0B0B0B13
	v_mul_f32_e32 v134, v19, v134                              // 0000000084A8: 0B0D0D13
	v_mul_f32_e32 v135, v19, v135                              // 0000000084AC: 0B0F0F13
	v_mul_f32_e32 v136, v19, v136                              // 0000000084B0: 0B111113
	v_mul_f32_e32 v137, v19, v137                              // 0000000084B4: 0B131313
	v_mul_f32_e32 v138, v19, v138                              // 0000000084B8: 0B151513
	v_mul_f32_e32 v139, v19, v139                              // 0000000084BC: 0B171713
	v_mul_f32_e32 v140, v19, v140                              // 0000000084C0: 0B191913
	v_mul_f32_e32 v141, v19, v141                              // 0000000084C4: 0B1B1B13
	v_mul_f32_e32 v142, v19, v142                              // 0000000084C8: 0B1D1D13
	v_mul_f32_e32 v143, v19, v143                              // 0000000084CC: 0B1F1F13
	v_mul_f32_dpp v128, v248, v128 quad_perm:[0,0,0,0] row_mask:0xf bank_mask:0xf// 0000000084D0: 0B0100FA FF0000F8
	v_mul_f32_dpp v129, v248, v129 quad_perm:[1,1,1,1] row_mask:0xf bank_mask:0xf// 0000000084D8: 0B0302FA FF0055F8
	v_mul_f32_dpp v130, v248, v130 quad_perm:[2,2,2,2] row_mask:0xf bank_mask:0xf// 0000000084E0: 0B0504FA FF00AAF8
	v_mul_f32_dpp v131, v248, v131 quad_perm:[3,3,3,3] row_mask:0xf bank_mask:0xf// 0000000084E8: 0B0706FA FF00FFF8
	v_mul_f32_dpp v132, v249, v132 quad_perm:[0,0,0,0] row_mask:0xf bank_mask:0xf// 0000000084F0: 0B0908FA FF0000F9
	v_mul_f32_dpp v133, v249, v133 quad_perm:[1,1,1,1] row_mask:0xf bank_mask:0xf// 0000000084F8: 0B0B0AFA FF0055F9
	v_mul_f32_dpp v134, v249, v134 quad_perm:[2,2,2,2] row_mask:0xf bank_mask:0xf// 000000008500: 0B0D0CFA FF00AAF9
	v_mul_f32_dpp v135, v249, v135 quad_perm:[3,3,3,3] row_mask:0xf bank_mask:0xf// 000000008508: 0B0F0EFA FF00FFF9
	v_mul_f32_dpp v136, v250, v136 quad_perm:[0,0,0,0] row_mask:0xf bank_mask:0xf// 000000008510: 0B1110FA FF0000FA
	v_mul_f32_dpp v137, v250, v137 quad_perm:[1,1,1,1] row_mask:0xf bank_mask:0xf// 000000008518: 0B1312FA FF0055FA
	v_mul_f32_dpp v138, v250, v138 quad_perm:[2,2,2,2] row_mask:0xf bank_mask:0xf// 000000008520: 0B1514FA FF00AAFA
	v_mul_f32_dpp v139, v250, v139 quad_perm:[3,3,3,3] row_mask:0xf bank_mask:0xf// 000000008528: 0B1716FA FF00FFFA
	v_mul_f32_dpp v140, v251, v140 quad_perm:[0,0,0,0] row_mask:0xf bank_mask:0xf// 000000008530: 0B1918FA FF0000FB
	v_mul_f32_dpp v141, v251, v141 quad_perm:[1,1,1,1] row_mask:0xf bank_mask:0xf// 000000008538: 0B1B1AFA FF0055FB
	v_mul_f32_dpp v142, v251, v142 quad_perm:[2,2,2,2] row_mask:0xf bank_mask:0xf// 000000008540: 0B1D1CFA FF00AAFB
	v_mul_f32_dpp v143, v251, v143 quad_perm:[3,3,3,3] row_mask:0xf bank_mask:0xf// 000000008548: 0B1F1EFA FF00FFFB
	s_cmp_le_i32 s90, s89                                      // 000000008550: BF05595A
	s_cbranch_scc1 label_1947                                  // 000000008554: BF850071
	v_mov_b32_e32 v66, 0xff800000                              // 000000008558: 7E8402FF FF800000
	s_mov_b32 s60, s90                                         // 000000008560: BEBC005A
	s_add_u32 s61, s89, 0xff                                   // 000000008564: 803DFF59 000000FF
	v_mov_b32_e32 v64, s61                                     // 00000000856C: 7E80023D
	v_lshrrev_b32_e32 v240, 4, v0                              // 000000008570: 21E00084
	v_mul_i32_i24_e32 v240, 4, v240                            // 000000008574: 0DE1E084
	v_add_u32_e32 v240, s60, v240                              // 000000008578: 69E1E03C
	s_mov_b32 s61, 1                                           // 00000000857C: BEBD0081
	s_mul_i32 s60, 16, s7                                      // 000000008580: 923C0790
	v_sub_u32_e64 v240, v240, s61                              // 000000008584: D13500F0 00007BF0
	v_add_u32_e32 v240, s60, v240                              // 00000000858C: 69E1E03C
	v_add_u32_e32 v241, 1, v240                                // 000000008590: 69E3E081
	v_add_u32_e32 v242, 2, v240                                // 000000008594: 69E5E082
	v_add_u32_e32 v243, 3, v240                                // 000000008598: 69E7E083
	v_cmp_le_u32_e64 s[40:41], v240, v64                       // 00000000859C: D0CB0028 000281F0
	v_add_u32_e32 v240, 64, v240                               // 0000000085A4: 69E1E0C0
	s_nop 0                                                    // 0000000085A8: BF800000
	v_cndmask_b32_e64 v128, v66, v128, s[40:41]                // 0000000085AC: D1000080 00A30142
	v_cmp_le_u32_e64 s[40:41], v241, v64                       // 0000000085B4: D0CB0028 000281F1
	v_add_u32_e32 v241, 64, v241                               // 0000000085BC: 69E3E2C0
	s_nop 0                                                    // 0000000085C0: BF800000
	v_cndmask_b32_e64 v129, v66, v129, s[40:41]                // 0000000085C4: D1000081 00A30342
	v_cmp_le_u32_e64 s[40:41], v242, v64                       // 0000000085CC: D0CB0028 000281F2
	v_add_u32_e32 v242, 64, v242                               // 0000000085D4: 69E5E4C0
	s_nop 0                                                    // 0000000085D8: BF800000
	v_cndmask_b32_e64 v130, v66, v130, s[40:41]                // 0000000085DC: D1000082 00A30542
	v_cmp_le_u32_e64 s[40:41], v243, v64                       // 0000000085E4: D0CB0028 000281F3
	v_add_u32_e32 v243, 64, v243                               // 0000000085EC: 69E7E6C0
	s_nop 0                                                    // 0000000085F0: BF800000
	v_cndmask_b32_e64 v131, v66, v131, s[40:41]                // 0000000085F4: D1000083 00A30742
	v_cmp_le_u32_e64 s[40:41], v240, v64                       // 0000000085FC: D0CB0028 000281F0
	v_add_u32_e32 v240, 64, v240                               // 000000008604: 69E1E0C0
	s_nop 0                                                    // 000000008608: BF800000
	v_cndmask_b32_e64 v132, v66, v132, s[40:41]                // 00000000860C: D1000084 00A30942
	v_cmp_le_u32_e64 s[40:41], v241, v64                       // 000000008614: D0CB0028 000281F1
	v_add_u32_e32 v241, 64, v241                               // 00000000861C: 69E3E2C0
	s_nop 0                                                    // 000000008620: BF800000
	v_cndmask_b32_e64 v133, v66, v133, s[40:41]                // 000000008624: D1000085 00A30B42
	v_cmp_le_u32_e64 s[40:41], v242, v64                       // 00000000862C: D0CB0028 000281F2
	v_add_u32_e32 v242, 64, v242                               // 000000008634: 69E5E4C0
	s_nop 0                                                    // 000000008638: BF800000
	v_cndmask_b32_e64 v134, v66, v134, s[40:41]                // 00000000863C: D1000086 00A30D42
	v_cmp_le_u32_e64 s[40:41], v243, v64                       // 000000008644: D0CB0028 000281F3
	v_add_u32_e32 v243, 64, v243                               // 00000000864C: 69E7E6C0
	s_nop 0                                                    // 000000008650: BF800000
	v_cndmask_b32_e64 v135, v66, v135, s[40:41]                // 000000008654: D1000087 00A30F42
	v_cmp_le_u32_e64 s[40:41], v240, v64                       // 00000000865C: D0CB0028 000281F0
	v_add_u32_e32 v240, 64, v240                               // 000000008664: 69E1E0C0
	s_nop 0                                                    // 000000008668: BF800000
	v_cndmask_b32_e64 v136, v66, v136, s[40:41]                // 00000000866C: D1000088 00A31142
	v_cmp_le_u32_e64 s[40:41], v241, v64                       // 000000008674: D0CB0028 000281F1
	v_add_u32_e32 v241, 64, v241                               // 00000000867C: 69E3E2C0
	s_nop 0                                                    // 000000008680: BF800000
	v_cndmask_b32_e64 v137, v66, v137, s[40:41]                // 000000008684: D1000089 00A31342
	v_cmp_le_u32_e64 s[40:41], v242, v64                       // 00000000868C: D0CB0028 000281F2
	v_add_u32_e32 v242, 64, v242                               // 000000008694: 69E5E4C0
	s_nop 0                                                    // 000000008698: BF800000
	v_cndmask_b32_e64 v138, v66, v138, s[40:41]                // 00000000869C: D100008A 00A31542
	v_cmp_le_u32_e64 s[40:41], v243, v64                       // 0000000086A4: D0CB0028 000281F3
	v_add_u32_e32 v243, 64, v243                               // 0000000086AC: 69E7E6C0
	s_nop 0                                                    // 0000000086B0: BF800000
	v_cndmask_b32_e64 v139, v66, v139, s[40:41]                // 0000000086B4: D100008B 00A31742
	v_cmp_le_u32_e64 s[40:41], v240, v64                       // 0000000086BC: D0CB0028 000281F0
	v_add_u32_e32 v240, 64, v240                               // 0000000086C4: 69E1E0C0
	s_nop 0                                                    // 0000000086C8: BF800000
	v_cndmask_b32_e64 v140, v66, v140, s[40:41]                // 0000000086CC: D100008C 00A31942
	v_cmp_le_u32_e64 s[40:41], v241, v64                       // 0000000086D4: D0CB0028 000281F1
	v_add_u32_e32 v241, 64, v241                               // 0000000086DC: 69E3E2C0
	s_nop 0                                                    // 0000000086E0: BF800000
	v_cndmask_b32_e64 v141, v66, v141, s[40:41]                // 0000000086E4: D100008D 00A31B42
	v_cmp_le_u32_e64 s[40:41], v242, v64                       // 0000000086EC: D0CB0028 000281F2
	v_add_u32_e32 v242, 64, v242                               // 0000000086F4: 69E5E4C0
	s_nop 0                                                    // 0000000086F8: BF800000
	v_cndmask_b32_e64 v142, v66, v142, s[40:41]                // 0000000086FC: D100008E 00A31D42
	v_cmp_le_u32_e64 s[40:41], v243, v64                       // 000000008704: D0CB0028 000281F3
	v_add_u32_e32 v243, 64, v243                               // 00000000870C: 69E7E6C0
	s_nop 0                                                    // 000000008710: BF800000
	v_cndmask_b32_e64 v143, v66, v143, s[40:41]                // 000000008714: D100008F 00A31F42

000000000000871c <label_1947>:
	s_add_u32 s90, s91, s90                                    // 00000000871C: 805A5A5B
	v_mov_b32_e32 v48, v128                                    // 000000008720: 7E600380
	v_max3_f32 v48, v128, v129, v48                            // 000000008724: D1D30030 04C30380
	v_max3_f32 v48, v130, v131, v48                            // 00000000872C: D1D30030 04C30782
	v_max3_f32 v48, v132, v133, v48                            // 000000008734: D1D30030 04C30B84
	v_max3_f32 v48, v134, v135, v48                            // 00000000873C: D1D30030 04C30F86
	v_max3_f32 v48, v136, v137, v48                            // 000000008744: D1D30030 04C31388
	v_max3_f32 v48, v138, v139, v48                            // 00000000874C: D1D30030 04C3178A
	v_max3_f32 v48, v140, v141, v48                            // 000000008754: D1D30030 04C31B8C
	v_max3_f32 v48, v142, v143, v48                            // 00000000875C: D1D30030 04C31F8E
	ds_write_b32 v8, v48 offset:16896                          // 000000008764: D81A4200 00003008
	v_mul_f32_e32 v216, v50, v216                              // 00000000876C: 0BB1B132
	v_mul_f32_e32 v217, v50, v217                              // 000000008770: 0BB3B332
	v_mul_f32_e32 v218, v50, v218                              // 000000008774: 0BB5B532
	v_mul_f32_e32 v219, v50, v219                              // 000000008778: 0BB7B732
	v_mul_f32_e32 v220, v50, v220                              // 00000000877C: 0BB9B932
	v_mul_f32_e32 v221, v50, v221                              // 000000008780: 0BBBBB32
	v_mul_f32_e32 v222, v50, v222                              // 000000008784: 0BBDBD32
	v_mul_f32_e32 v223, v50, v223                              // 000000008788: 0BBFBF32
	s_waitcnt lgkmcnt(0)                                       // 00000000878C: BF8CC07F
	s_barrier                                                  // 000000008790: BF8A0000
	ds_read_b32 v64, v7 offset:16896                           // 000000008794: D86C4200 40000007
	ds_read_b32 v65, v7 offset:16960                           // 00000000879C: D86C4240 41000007
	ds_read_b32 v66, v7 offset:17024                           // 0000000087A4: D86C4280 42000007
	ds_read_b32 v67, v7 offset:17088                           // 0000000087AC: D86C42C0 43000007
	ds_read_b32 v68, v7 offset:17152                           // 0000000087B4: D86C4300 44000007
	ds_read_b32 v69, v7 offset:17216                           // 0000000087BC: D86C4340 45000007
	ds_read_b32 v70, v7 offset:17280                           // 0000000087C4: D86C4380 46000007
	ds_read_b32 v71, v7 offset:17344                           // 0000000087CC: D86C43C0 47000007
	ds_read_b32 v72, v7 offset:17408                           // 0000000087D4: D86C4400 48000007
	ds_read_b32 v73, v7 offset:17472                           // 0000000087DC: D86C4440 49000007
	ds_read_b32 v74, v7 offset:17536                           // 0000000087E4: D86C4480 4A000007
	ds_read_b32 v75, v7 offset:17600                           // 0000000087EC: D86C44C0 4B000007
	ds_read_b32 v76, v7 offset:17664                           // 0000000087F4: D86C4500 4C000007
	ds_read_b32 v77, v7 offset:17728                           // 0000000087FC: D86C4540 4D000007
	ds_read_b32 v78, v7 offset:17792                           // 000000008804: D86C4580 4E000007
	ds_read_b32 v79, v7 offset:17856                           // 00000000880C: D86C45C0 4F000007
	v_mul_f32_e32 v184, v45, v184                              // 000000008814: 0B71712D
	v_mul_f32_e32 v185, v45, v185                              // 000000008818: 0B73732D
	v_mul_f32_e32 v186, v45, v186                              // 00000000881C: 0B75752D
	v_mul_f32_e32 v187, v45, v187                              // 000000008820: 0B77772D
	v_mul_f32_e32 v188, v45, v188                              // 000000008824: 0B79792D
	v_mul_f32_e32 v189, v45, v189                              // 000000008828: 0B7B7B2D
	v_mul_f32_e32 v190, v45, v190                              // 00000000882C: 0B7D7D2D
	v_mul_f32_e32 v191, v45, v191                              // 000000008830: 0B7F7F2D
	s_waitcnt lgkmcnt(0)                                       // 000000008834: BF8CC07F
	v_max3_f32 v48, v64, v65, v48                              // 000000008838: D1D30030 04C28340
	v_max3_f32 v48, v66, v67, v48                              // 000000008840: D1D30030 04C28742
	v_max3_f32 v48, v68, v69, v48                              // 000000008848: D1D30030 04C28B44
	v_max3_f32 v48, v70, v71, v48                              // 000000008850: D1D30030 04C28F46
	v_max3_f32 v48, v72, v73, v48                              // 000000008858: D1D30030 04C29348
	v_max3_f32 v48, v74, v75, v48                              // 000000008860: D1D30030 04C2974A
	v_max3_f32 v48, v76, v77, v48                              // 000000008868: D1D30030 04C29B4C
	v_max3_f32 v48, v78, v79, v48                              // 000000008870: D1D30030 04C29F4E
	v_mov_b32_e32 v64, 0xff800000                              // 000000008878: 7E8002FF FF800000
	v_cmp_eq_u32_e64 s[40:41], v64, v12                        // 000000008880: D0CA0028 00021940
	s_nop 1                                                    // 000000008888: BF800001
	v_max_f32_e32 v15, v48, v12                                // 00000000888C: 161E1930
	v_mul_f32_e32 v53, s64, v15                                // 000000008890: 0A6A1E40
	v_fma_f32 v128, v128, s64, -v53                            // 000000008894: D1CB0080 84D48180
	v_fma_f32 v129, v129, s64, -v53                            // 00000000889C: D1CB0081 84D48181
	v_fma_f32 v130, v130, s64, -v53                            // 0000000088A4: D1CB0082 84D48182
	v_fma_f32 v131, v131, s64, -v53                            // 0000000088AC: D1CB0083 84D48183
	v_fma_f32 v132, v132, s64, -v53                            // 0000000088B4: D1CB0084 84D48184
	v_fma_f32 v133, v133, s64, -v53                            // 0000000088BC: D1CB0085 84D48185
	v_fma_f32 v134, v134, s64, -v53                            // 0000000088C4: D1CB0086 84D48186
	v_fma_f32 v135, v135, s64, -v53                            // 0000000088CC: D1CB0087 84D48187
	v_fma_f32 v136, v136, s64, -v53                            // 0000000088D4: D1CB0088 84D48188
	v_fma_f32 v137, v137, s64, -v53                            // 0000000088DC: D1CB0089 84D48189
	v_fma_f32 v138, v138, s64, -v53                            // 0000000088E4: D1CB008A 84D4818A
	v_fma_f32 v139, v139, s64, -v53                            // 0000000088EC: D1CB008B 84D4818B
	v_fma_f32 v140, v140, s64, -v53                            // 0000000088F4: D1CB008C 84D4818C
	v_fma_f32 v141, v141, s64, -v53                            // 0000000088FC: D1CB008D 84D4818D
	v_fma_f32 v142, v142, s64, -v53                            // 000000008904: D1CB008E 84D4818E
	v_fma_f32 v143, v143, s64, -v53                            // 00000000890C: D1CB008F 84D4818F
	v_exp_f32_e32 v128, v128                                   // 000000008914: 7F004180
	v_exp_f32_e32 v129, v129                                   // 000000008918: 7F024181
	v_exp_f32_e32 v130, v130                                   // 00000000891C: 7F044182
	v_exp_f32_e32 v131, v131                                   // 000000008920: 7F064183
	v_exp_f32_e32 v132, v132                                   // 000000008924: 7F084184
	v_exp_f32_e32 v133, v133                                   // 000000008928: 7F0A4185
	v_exp_f32_e32 v134, v134                                   // 00000000892C: 7F0C4186
	v_exp_f32_e32 v135, v135                                   // 000000008930: 7F0E4187
	v_exp_f32_e32 v136, v136                                   // 000000008934: 7F104188
	v_exp_f32_e32 v137, v137                                   // 000000008938: 7F124189
	v_exp_f32_e32 v138, v138                                   // 00000000893C: 7F14418A
	v_exp_f32_e32 v139, v139                                   // 000000008940: 7F16418B
	v_exp_f32_e32 v140, v140                                   // 000000008944: 7F18418C
	v_exp_f32_e32 v141, v141                                   // 000000008948: 7F1A418D
	v_exp_f32_e32 v142, v142                                   // 00000000894C: 7F1C418E
	v_exp_f32_e32 v143, v143                                   // 000000008950: 7F1E418F
	v_mul_f32_dpp v240, v252, v128 quad_perm:[0,0,0,0] row_mask:0xf bank_mask:0xf// 000000008954: 0BE100FA FF0000FC
	v_mul_f32_dpp v241, v252, v129 quad_perm:[1,1,1,1] row_mask:0xf bank_mask:0xf// 00000000895C: 0BE302FA FF0055FC
	v_mul_f32_dpp v242, v252, v130 quad_perm:[2,2,2,2] row_mask:0xf bank_mask:0xf// 000000008964: 0BE504FA FF00AAFC
	v_mul_f32_dpp v243, v252, v131 quad_perm:[3,3,3,3] row_mask:0xf bank_mask:0xf// 00000000896C: 0BE706FA FF00FFFC
	v_mul_f32_dpp v244, v253, v132 quad_perm:[0,0,0,0] row_mask:0xf bank_mask:0xf// 000000008974: 0BE908FA FF0000FD
	v_mul_f32_dpp v245, v253, v133 quad_perm:[1,1,1,1] row_mask:0xf bank_mask:0xf// 00000000897C: 0BEB0AFA FF0055FD
	v_mul_f32_dpp v246, v253, v134 quad_perm:[2,2,2,2] row_mask:0xf bank_mask:0xf// 000000008984: 0BED0CFA FF00AAFD
	v_mul_f32_dpp v247, v253, v135 quad_perm:[3,3,3,3] row_mask:0xf bank_mask:0xf// 00000000898C: 0BEF0EFA FF00FFFD
	v_mul_f32_dpp v248, v254, v136 quad_perm:[0,0,0,0] row_mask:0xf bank_mask:0xf// 000000008994: 0BF110FA FF0000FE
	v_mul_f32_dpp v249, v254, v137 quad_perm:[1,1,1,1] row_mask:0xf bank_mask:0xf// 00000000899C: 0BF312FA FF0055FE
	v_mul_f32_dpp v250, v254, v138 quad_perm:[2,2,2,2] row_mask:0xf bank_mask:0xf// 0000000089A4: 0BF514FA FF00AAFE
	v_mul_f32_dpp v251, v254, v139 quad_perm:[3,3,3,3] row_mask:0xf bank_mask:0xf// 0000000089AC: 0BF716FA FF00FFFE
	v_mul_f32_dpp v252, v255, v140 quad_perm:[0,0,0,0] row_mask:0xf bank_mask:0xf// 0000000089B4: 0BF918FA FF0000FF
	v_mul_f32_dpp v253, v255, v141 quad_perm:[1,1,1,1] row_mask:0xf bank_mask:0xf// 0000000089BC: 0BFB1AFA FF0055FF
	v_mul_f32_dpp v254, v255, v142 quad_perm:[2,2,2,2] row_mask:0xf bank_mask:0xf// 0000000089C4: 0BFD1CFA FF00AAFF
	v_mul_f32_dpp v255, v255, v143 quad_perm:[3,3,3,3] row_mask:0xf bank_mask:0xf// 0000000089CC: 0BFF1EFA FF00FFFF
	v_mov_b32_e32 v48, 0x358637bd                              // 0000000089D4: 7E6002FF 358637BD
	v_max3_f32 v48, |v240|, |v241|, v48                        // 0000000089DC: D1D30330 04C3E3F0
	v_max3_f32 v48, |v242|, |v243|, v48                        // 0000000089E4: D1D30330 04C3E7F2
	v_max3_f32 v48, |v244|, |v245|, v48                        // 0000000089EC: D1D30330 04C3EBF4
	v_max3_f32 v48, |v246|, |v247|, v48                        // 0000000089F4: D1D30330 04C3EFF6
	v_max3_f32 v48, |v248|, |v249|, v48                        // 0000000089FC: D1D30330 04C3F3F8
	v_max3_f32 v48, |v250|, |v251|, v48                        // 000000008A04: D1D30330 04C3F7FA
	v_max3_f32 v48, |v252|, |v253|, v48                        // 000000008A0C: D1D30330 04C3FBFC
	v_max3_f32 v48, |v254|, |v255|, v48                        // 000000008A14: D1D30330 04C3FFFE
	ds_write_b32 v8, v48 offset:20992                          // 000000008A1C: D81A5200 00003008
	v_sub_f32_e32 v50, v12, v15                                // 000000008A24: 04641F0C
	v_cndmask_b32_e64 v50, v50, 0, s[40:41]                    // 000000008A28: D1000032 00A10132
	v_mov_b32_e32 v12, v15                                     // 000000008A30: 7E18030F
	v_mul_f32_e32 v50, s64, v50                                // 000000008A34: 0A646440
	v_exp_f32_e32 v50, v50                                     // 000000008A38: 7E644132
	s_waitcnt lgkmcnt(0)                                       // 000000008A3C: BF8CC07F
	s_barrier                                                  // 000000008A40: BF8A0000
	ds_read_b32 v64, v7 offset:20992                           // 000000008A44: D86C5200 40000007
	ds_read_b32 v65, v7 offset:21056                           // 000000008A4C: D86C5240 41000007
	ds_read_b32 v66, v7 offset:21120                           // 000000008A54: D86C5280 42000007
	ds_read_b32 v67, v7 offset:21184                           // 000000008A5C: D86C52C0 43000007
	ds_read_b32 v68, v7 offset:21248                           // 000000008A64: D86C5300 44000007
	ds_read_b32 v69, v7 offset:21312                           // 000000008A6C: D86C5340 45000007
	ds_read_b32 v70, v7 offset:21376                           // 000000008A74: D86C5380 46000007
	ds_read_b32 v71, v7 offset:21440                           // 000000008A7C: D86C53C0 47000007
	ds_read_b32 v72, v7 offset:21504                           // 000000008A84: D86C5400 48000007
	ds_read_b32 v73, v7 offset:21568                           // 000000008A8C: D86C5440 49000007
	ds_read_b32 v74, v7 offset:21632                           // 000000008A94: D86C5480 4A000007
	ds_read_b32 v75, v7 offset:21696                           // 000000008A9C: D86C54C0 4B000007
	ds_read_b32 v76, v7 offset:21760                           // 000000008AA4: D86C5500 4C000007
	ds_read_b32 v77, v7 offset:21824                           // 000000008AAC: D86C5540 4D000007
	ds_read_b32 v78, v7 offset:21888                           // 000000008AB4: D86C5580 4E000007
	ds_read_b32 v79, v7 offset:21952                           // 000000008ABC: D86C55C0 4F000007
	v_mul_f32_e32 v39, v50, v39                                // 000000008AC4: 0A4E4F32
	v_mov_b32_e32 v15, v128                                    // 000000008AC8: 7E1E0380
	v_add_f32_e32 v15, v129, v15                               // 000000008ACC: 021E1F81
	v_add_f32_e32 v15, v130, v15                               // 000000008AD0: 021E1F82
	v_add_f32_e32 v15, v131, v15                               // 000000008AD4: 021E1F83
	v_add_f32_e32 v15, v132, v15                               // 000000008AD8: 021E1F84
	v_add_f32_e32 v15, v133, v15                               // 000000008ADC: 021E1F85
	v_add_f32_e32 v15, v134, v15                               // 000000008AE0: 021E1F86
	v_add_f32_e32 v15, v135, v15                               // 000000008AE4: 021E1F87
	v_add_f32_e32 v15, v136, v15                               // 000000008AE8: 021E1F88
	v_add_f32_e32 v15, v137, v15                               // 000000008AEC: 021E1F89
	v_add_f32_e32 v15, v138, v15                               // 000000008AF0: 021E1F8A
	v_add_f32_e32 v15, v139, v15                               // 000000008AF4: 021E1F8B
	v_add_f32_e32 v15, v140, v15                               // 000000008AF8: 021E1F8C
	v_add_f32_e32 v15, v141, v15                               // 000000008AFC: 021E1F8D
	v_add_f32_e32 v15, v142, v15                               // 000000008B00: 021E1F8E
	v_add_f32_e32 v15, v143, v15                               // 000000008B04: 021E1F8F
	v_add_f32_e32 v39, v15, v39                                // 000000008B08: 024E4F0F
	s_waitcnt lgkmcnt(0)                                       // 000000008B0C: BF8CC07F
	v_max3_f32 v48, |v64|, |v65|, v48                          // 000000008B10: D1D30330 04C28340
	v_max3_f32 v48, |v66|, |v67|, v48                          // 000000008B18: D1D30330 04C28742
	v_max3_f32 v48, |v68|, |v69|, v48                          // 000000008B20: D1D30330 04C28B44
	v_max3_f32 v48, |v70|, |v71|, v48                          // 000000008B28: D1D30330 04C28F46
	v_max3_f32 v48, |v72|, |v73|, v48                          // 000000008B30: D1D30330 04C29348
	v_max3_f32 v48, |v74|, |v75|, v48                          // 000000008B38: D1D30330 04C2974A
	v_max3_f32 v48, |v76|, |v77|, v48                          // 000000008B40: D1D30330 04C29B4C
	v_max3_f32 v48, |v78|, |v79|, v48                          // 000000008B48: D1D30330 04C29F4E
	s_nop 2                                                    // 000000008B50: BF800002
	v_rcp_f32_e32 v48, v48                                     // 000000008B54: 7E604530
	s_nop 1                                                    // 000000008B58: BF800001
	v_mul_f32_e32 v48, 0x43700000, v48                         // 000000008B5C: 0A6060FF 43700000
	v_mul_f32_e32 v128, v48, v240                              // 000000008B64: 0B01E130
	v_mul_f32_e32 v129, v48, v241                              // 000000008B68: 0B03E330
	v_mul_f32_e32 v130, v48, v242                              // 000000008B6C: 0B05E530
	v_mul_f32_e32 v131, v48, v243                              // 000000008B70: 0B07E730
	v_mul_f32_e32 v132, v48, v244                              // 000000008B74: 0B09E930
	v_mul_f32_e32 v133, v48, v245                              // 000000008B78: 0B0BEB30
	v_mul_f32_e32 v134, v48, v246                              // 000000008B7C: 0B0DED30
	v_mul_f32_e32 v135, v48, v247                              // 000000008B80: 0B0FEF30
	v_mul_f32_e32 v136, v48, v248                              // 000000008B84: 0B11F130
	v_mul_f32_e32 v137, v48, v249                              // 000000008B88: 0B13F330
	v_mul_f32_e32 v138, v48, v250                              // 000000008B8C: 0B15F530
	v_mul_f32_e32 v139, v48, v251                              // 000000008B90: 0B17F730
	v_mul_f32_e32 v140, v48, v252                              // 000000008B94: 0B19F930
	v_mul_f32_e32 v141, v48, v253                              // 000000008B98: 0B1BFB30
	v_mul_f32_e32 v142, v48, v254                              // 000000008B9C: 0B1DFD30
	v_mul_f32_e32 v143, v48, v255                              // 000000008BA0: 0B1FFF30
	v_cvt_pk_fp8_f32 v128, v128, v129                          // 000000008BA4: D2A20080 00030380
	v_cvt_pk_fp8_f32 v128, v130, v131 op_sel:[0,0,1]           // 000000008BAC: D2A24080 00030782
	v_cvt_pk_fp8_f32 v129, v132, v133                          // 000000008BB4: D2A20081 00030B84
	v_cvt_pk_fp8_f32 v129, v134, v135 op_sel:[0,0,1]           // 000000008BBC: D2A24081 00030F86
	v_cvt_pk_fp8_f32 v130, v136, v137                          // 000000008BC4: D2A20082 00031388
	v_cvt_pk_fp8_f32 v130, v138, v139 op_sel:[0,0,1]           // 000000008BCC: D2A24082 0003178A
	v_cvt_pk_fp8_f32 v131, v140, v141                          // 000000008BD4: D2A20083 00031B8C
	v_cvt_pk_fp8_f32 v131, v142, v143 op_sel:[0,0,1]           // 000000008BDC: D2A24083 00031F8E
	ds_write_b32 v10, v128 offset:29184                        // 000000008BE4: D81A7200 0000800A
	ds_write_b32 v10, v129 offset:30208                        // 000000008BEC: D81A7600 0000810A
	ds_write_b32 v10, v130 offset:31232                        // 000000008BF4: D81A7A00 0000820A
	ds_write_b32 v10, v131 offset:32256                        // 000000008BFC: D81A7E00 0000830A
	v_add_f32_e32 v216, v216, v184                             // 000000008C04: 03B171D8
	v_add_f32_e32 v217, v217, v185                             // 000000008C08: 03B373D9
	v_add_f32_e32 v218, v218, v186                             // 000000008C0C: 03B575DA
	v_add_f32_e32 v219, v219, v187                             // 000000008C10: 03B777DB
	v_add_f32_e32 v220, v220, v188                             // 000000008C14: 03B979DC
	v_add_f32_e32 v221, v221, v189                             // 000000008C18: 03BB7BDD
	v_add_f32_e32 v222, v222, v190                             // 000000008C1C: 03BD7DDE
	v_add_f32_e32 v223, v223, v191                             // 000000008C20: 03BF7FDF
	v_rcp_f32_e32 v45, v48                                     // 000000008C24: 7E5A4530
	s_waitcnt lgkmcnt(0)                                       // 000000008C28: BF8CC07F
	s_barrier                                                  // 000000008C2C: BF8A0000
	ds_read_b64 v[128:129], v9 offset:29184                    // 000000008C30: D8EC7200 80000009
	ds_read_b64 v[130:131], v9 offset:29312                    // 000000008C38: D8EC7280 82000009
	ds_read_b64 v[132:133], v9 offset:30208                    // 000000008C40: D8EC7600 84000009
	ds_read_b64 v[134:135], v9 offset:30336                    // 000000008C48: D8EC7680 86000009
	ds_read_b64 v[136:137], v9 offset:31232                    // 000000008C50: D8EC7A00 88000009
	ds_read_b64 v[138:139], v9 offset:31360                    // 000000008C58: D8EC7A80 8A000009
	ds_read_b64 v[140:141], v9 offset:32256                    // 000000008C60: D8EC7E00 8C000009
	ds_read_b64 v[142:143], v9 offset:32384                    // 000000008C68: D8EC7E80 8E000009
	s_waitcnt vmcnt(15)                                        // 000000008C70: BF8C0F7F
	v_mfma_f32_16x16x32_fp8_fp8 v[176:179], a[64:65], v[112:113], 0// 000000008C74: D3F300B0 0A02E140
	v_mfma_f32_16x16x32_fp8_fp8 v[176:179], a[66:67], v[114:115], v[176:179]// 000000008C7C: D3F300B0 0EC2E542
	buffer_load_dwordx4 a[112:115], v34, s[20:23], 0 offen offset:1024// 000000008C84: E05C1400 80857022
	v_mfma_f32_16x16x32_fp8_fp8 v[176:179], a[68:69], v[116:117], v[176:179]// 000000008C8C: D3F300B0 0EC2E944
	v_mfma_f32_16x16x32_fp8_fp8 v[176:179], a[70:71], v[118:119], v[176:179]// 000000008C94: D3F300B0 0EC2ED46
	v_mfma_f32_16x16x32_fp8_fp8 v[176:179], a[72:73], v[120:121], v[176:179]// 000000008C9C: D3F300B0 0EC2F148
	v_mfma_f32_16x16x32_fp8_fp8 v[176:179], a[74:75], v[122:123], v[176:179]// 000000008CA4: D3F300B0 0EC2F54A
	buffer_load_dwordx4 a[116:119], v35, s[20:23], 0 offen offset:1024// 000000008CAC: E05C1400 80857423
	v_mfma_f32_16x16x32_fp8_fp8 v[176:179], a[76:77], v[124:125], v[176:179]// 000000008CB4: D3F300B0 0EC2F94C
	v_mfma_f32_16x16x32_fp8_fp8 v[176:179], a[78:79], v[126:127], v[176:179]// 000000008CBC: D3F300B0 0EC2FD4E
	v_mfma_f32_16x16x32_fp8_fp8 v[180:183], a[80:81], v[112:113], 0// 000000008CC4: D3F300B4 0A02E150
	v_mfma_f32_16x16x32_fp8_fp8 v[180:183], a[82:83], v[114:115], v[180:183]// 000000008CCC: D3F300B4 0ED2E552
	buffer_load_dwordx4 a[120:123], v36, s[20:23], 0 offen offset:1024// 000000008CD4: E05C1400 80857824
	v_mfma_f32_16x16x32_fp8_fp8 v[180:183], a[84:85], v[116:117], v[180:183]// 000000008CDC: D3F300B4 0ED2E954
	v_mfma_f32_16x16x32_fp8_fp8 v[180:183], a[86:87], v[118:119], v[180:183]// 000000008CE4: D3F300B4 0ED2ED56
	v_mfma_f32_16x16x32_fp8_fp8 v[180:183], a[88:89], v[120:121], v[180:183]// 000000008CEC: D3F300B4 0ED2F158
	v_mfma_f32_16x16x32_fp8_fp8 v[180:183], a[90:91], v[122:123], v[180:183]// 000000008CF4: D3F300B4 0ED2F55A
	buffer_load_dwordx4 a[124:127], v37, s[20:23], 0 offen offset:1024// 000000008CFC: E05C1400 80857C25
	v_mfma_f32_16x16x32_fp8_fp8 v[180:183], a[92:93], v[124:125], v[180:183]// 000000008D04: D3F300B4 0ED2F95C
	s_lshr_b32 s57, s70, 4                                     // 000000008D0C: 8F398446
	s_add_u32 s57, 48, s57                                     // 000000008D10: 803939B0
	v_mfma_f32_16x16x32_fp8_fp8 v[180:183], a[94:95], v[126:127], v[180:183]// 000000008D14: D3F300B4 0ED2FD5E
	s_cmp_ge_u32 s57, s73                                      // 000000008D1C: BF094939
	s_cselect_b32 s56, 0, s56                                  // 000000008D20: 85383880
	v_mfma_f32_16x16x32_fp8_fp8 v[184:187], a[64:65], v[128:129], 0// 000000008D24: D3F300B8 0A030140
	v_mfma_f32_16x16x32_fp8_fp8 v[184:187], a[66:67], v[130:131], v[184:187]// 000000008D2C: D3F300B8 0EE30542
	v_mfma_f32_16x16x32_fp8_fp8 v[184:187], a[68:69], v[132:133], v[184:187]// 000000008D34: D3F300B8 0EE30944
	v_mfma_f32_16x16x32_fp8_fp8 v[184:187], a[70:71], v[134:135], v[184:187]// 000000008D3C: D3F300B8 0EE30D46
	v_mfma_f32_16x16x32_fp8_fp8 v[184:187], a[72:73], v[136:137], v[184:187]// 000000008D44: D3F300B8 0EE31148
	v_mfma_f32_16x16x32_fp8_fp8 v[184:187], a[74:75], v[138:139], v[184:187]// 000000008D4C: D3F300B8 0EE3154A
	v_mfma_f32_16x16x32_fp8_fp8 v[184:187], a[76:77], v[140:141], v[184:187]// 000000008D54: D3F300B8 0EE3194C
	v_mfma_f32_16x16x32_fp8_fp8 v[184:187], a[78:79], v[142:143], v[184:187]// 000000008D5C: D3F300B8 0EE31D4E
	v_mfma_f32_16x16x32_fp8_fp8 v[188:191], a[80:81], v[128:129], 0// 000000008D64: D3F300BC 0A030150
	v_mfma_f32_16x16x32_fp8_fp8 v[188:191], a[82:83], v[130:131], v[188:191]// 000000008D6C: D3F300BC 0EF30552
	v_mfma_f32_16x16x32_fp8_fp8 v[188:191], a[84:85], v[132:133], v[188:191]// 000000008D74: D3F300BC 0EF30954
	v_mfma_f32_16x16x32_fp8_fp8 v[188:191], a[86:87], v[134:135], v[188:191]// 000000008D7C: D3F300BC 0EF30D56
	v_mfma_f32_16x16x32_fp8_fp8 v[188:191], a[88:89], v[136:137], v[188:191]// 000000008D84: D3F300BC 0EF31158
	v_mfma_f32_16x16x32_fp8_fp8 v[188:191], a[90:91], v[138:139], v[188:191]// 000000008D8C: D3F300BC 0EF3155A
	v_mfma_f32_16x16x32_fp8_fp8 v[188:191], a[92:93], v[140:141], v[188:191]// 000000008D94: D3F300BC 0EF3195C
	v_mfma_f32_16x16x32_fp8_fp8 v[188:191], a[94:95], v[142:143], v[188:191]// 000000008D9C: D3F300BC 0EF31D5E
	v_add_u32_e32 v1, s56, v1                                  // 000000008DA4: 68020238
	s_addk_i32 s70, 0x100                                      // 000000008DA8: B7460100
	s_cmp_lt_i32 s70, s71                                      // 000000008DAC: BF044746
	s_cbranch_scc0 label_2013                                  // 000000008DB0: BF840526
	s_waitcnt vmcnt(8) lgkmcnt(0)                              // 000000008DB4: BF8C0078
	v_mul_u32_u24_dpp v64, v16, v54 row_newbcast:0 row_mask:0xf bank_mask:0xf// 000000008DB8: 10806CFA FF015010
	v_mul_u32_u24_dpp v65, v16, v54 row_newbcast:4 row_mask:0xf bank_mask:0xf// 000000008DC0: 10826CFA FF015410
	v_mul_u32_u24_dpp v66, v16, v54 row_newbcast:8 row_mask:0xf bank_mask:0xf// 000000008DC8: 10846CFA FF015810
	v_mul_u32_u24_dpp v67, v16, v54 row_newbcast:12 row_mask:0xf bank_mask:0xf// 000000008DD0: 10866CFA FF015C10
	v_add_u32_e32 v22, v64, v5                                 // 000000008DD8: 682C0B40
	v_add_u32_e32 v23, v65, v5                                 // 000000008DDC: 682E0B41
	v_add_u32_e32 v24, v66, v5                                 // 000000008DE0: 68300B42
	v_add_u32_e32 v25, v67, v5                                 // 000000008DE4: 68320B43
	v_mul_u32_u24_dpp v64, v16, v63 quad_perm:[0,0,0,0] row_mask:0xf bank_mask:0xf// 000000008DE8: 10807EFA FF000010
	v_add_u32_e32 v2, v64, v59                                 // 000000008DF0: 68047740
	v_mul_u32_u24_dpp v64, v16, v63 quad_perm:[0,0,0,0] row_mask:0xf bank_mask:0xf// 000000008DF4: 10807EFA FF000010
	v_add_u32_e32 v55, v64, v60                                // 000000008DFC: 686E7940
	v_mfma_f32_16x16x32_fp8_fp8 v[112:115], a[32:33], v[80:81], 0// 000000008E00: D3F30070 0A02A120
	v_mfma_f32_16x16x32_fp8_fp8 v[112:115], a[34:35], v[82:83], v[112:115]// 000000008E08: D3F30070 0DC2A522
	buffer_load_dwordx4 a[0:3], v22, s[16:19], 0 offen         // 000000008E10: E05C1000 80840016
	v_mfma_f32_16x16x32_fp8_fp8 v[112:115], a[36:37], v[84:85], v[112:115]// 000000008E18: D3F30070 0DC2A924
	v_mfma_f32_16x16x32_fp8_fp8 v[112:115], a[38:39], v[86:87], v[112:115]// 000000008E20: D3F30070 0DC2AD26
	buffer_load_dword v17, v1, s[24:27], 0 offen               // 000000008E28: E0501000 80061101
	v_mfma_f32_16x16x32_fp8_fp8 v[116:119], a[40:41], v[80:81], 0// 000000008E30: D3F30074 0A02A128
	v_mfma_f32_16x16x32_fp8_fp8 v[116:119], a[42:43], v[82:83], v[116:119]// 000000008E38: D3F30074 0DD2A52A
	buffer_load_dwordx4 a[4:7], v22, s[16:19], 0 offen offset:1024// 000000008E40: E05C1400 80840416
	v_mfma_f32_16x16x32_fp8_fp8 v[116:119], a[44:45], v[84:85], v[116:119]// 000000008E48: D3F30074 0DD2A92C
	v_mfma_f32_16x16x32_fp8_fp8 v[116:119], a[46:47], v[86:87], v[116:119]// 000000008E50: D3F30074 0DD2AD2E
	v_mfma_f32_16x16x32_fp8_fp8 v[120:123], a[48:49], v[80:81], 0// 000000008E58: D3F30078 0A02A130
	v_mfma_f32_16x16x32_fp8_fp8 v[120:123], a[50:51], v[82:83], v[120:123]// 000000008E60: D3F30078 0DE2A532
	buffer_load_dwordx4 a[8:11], v23, s[16:19], 0 offen        // 000000008E68: E05C1000 80840817
	v_mfma_f32_16x16x32_fp8_fp8 v[120:123], a[52:53], v[84:85], v[120:123]// 000000008E70: D3F30078 0DE2A934
	v_mfma_f32_16x16x32_fp8_fp8 v[120:123], a[54:55], v[86:87], v[120:123]// 000000008E78: D3F30078 0DE2AD36
	v_mfma_f32_16x16x32_fp8_fp8 v[124:127], a[56:57], v[80:81], 0// 000000008E80: D3F3007C 0A02A138
	v_mfma_f32_16x16x32_fp8_fp8 v[124:127], a[58:59], v[82:83], v[124:127]// 000000008E88: D3F3007C 0DF2A53A
	buffer_load_dwordx4 a[12:15], v23, s[16:19], 0 offen offset:1024// 000000008E90: E05C1400 80840C17
	v_mfma_f32_16x16x32_fp8_fp8 v[124:127], a[60:61], v[84:85], v[124:127]// 000000008E98: D3F3007C 0DF2A93C
	v_mfma_f32_16x16x32_fp8_fp8 v[124:127], a[62:63], v[86:87], v[124:127]// 000000008EA0: D3F3007C 0DF2AD3E
	v_mfma_f32_16x16x32_fp8_fp8 v[128:131], a[32:33], v[88:89], 0// 000000008EA8: D3F30080 0A02B120
	v_mfma_f32_16x16x32_fp8_fp8 v[128:131], a[34:35], v[90:91], v[128:131]// 000000008EB0: D3F30080 0E02B522
	v_mfma_f32_16x16x32_fp8_fp8 v[128:131], a[36:37], v[92:93], v[128:131]// 000000008EB8: D3F30080 0E02B924
	v_mfma_f32_16x16x32_fp8_fp8 v[128:131], a[38:39], v[94:95], v[128:131]// 000000008EC0: D3F30080 0E02BD26
	v_mfma_f32_16x16x32_fp8_fp8 v[132:135], a[40:41], v[88:89], 0// 000000008EC8: D3F30084 0A02B128
	v_mfma_f32_16x16x32_fp8_fp8 v[132:135], a[42:43], v[90:91], v[132:135]// 000000008ED0: D3F30084 0E12B52A
	v_mfma_f32_16x16x32_fp8_fp8 v[132:135], a[44:45], v[92:93], v[132:135]// 000000008ED8: D3F30084 0E12B92C
	v_mfma_f32_16x16x32_fp8_fp8 v[132:135], a[46:47], v[94:95], v[132:135]// 000000008EE0: D3F30084 0E12BD2E
	v_mfma_f32_16x16x32_fp8_fp8 v[136:139], a[48:49], v[88:89], 0// 000000008EE8: D3F30088 0A02B130
	v_mfma_f32_16x16x32_fp8_fp8 v[136:139], a[50:51], v[90:91], v[136:139]// 000000008EF0: D3F30088 0E22B532
	v_mfma_f32_16x16x32_fp8_fp8 v[136:139], a[52:53], v[92:93], v[136:139]// 000000008EF8: D3F30088 0E22B934
	v_mfma_f32_16x16x32_fp8_fp8 v[136:139], a[54:55], v[94:95], v[136:139]// 000000008F00: D3F30088 0E22BD36
	v_mfma_f32_16x16x32_fp8_fp8 v[140:143], a[56:57], v[88:89], 0// 000000008F08: D3F3008C 0A02B138
	v_mfma_f32_16x16x32_fp8_fp8 v[140:143], a[58:59], v[90:91], v[140:143]// 000000008F10: D3F3008C 0E32B53A
	v_mfma_f32_16x16x32_fp8_fp8 v[140:143], a[60:61], v[92:93], v[140:143]// 000000008F18: D3F3008C 0E32B93C
	v_mfma_f32_16x16x32_fp8_fp8 v[140:143], a[62:63], v[94:95], v[140:143]// 000000008F20: D3F3008C 0E32BD3E
	buffer_load_dword v42, v2, s[32:35], 0 offen               // 000000008F28: E0501000 80082A02
	v_mov_b32_dpp v64, v43 row_shr:4 row_mask:0xf bank_mask:0xf// 000000008F30: 7E8002FA FF01142B
	v_mov_b32_dpp v65, v43 row_shl:4 row_mask:0xf bank_mask:0xf// 000000008F38: 7E8202FA FF01042B
	v_cndmask_b32_e64 v248, v43, v64, s[44:45]                 // 000000008F40: D10000F8 00B2812B
	v_cndmask_b32_e64 v249, v65, v43, s[44:45]                 // 000000008F48: D10000F9 00B25741
	v_mov_b32_dpp v64, v248 row_shr:8 row_mask:0xf bank_mask:0xf// 000000008F50: 7E8002FA FF0118F8
	v_mov_b32_dpp v65, v248 row_shl:8 row_mask:0xf bank_mask:0xf// 000000008F58: 7E8202FA FF0108F8
	v_mov_b32_dpp v66, v249 row_shr:8 row_mask:0xf bank_mask:0xf// 000000008F60: 7E8402FA FF0118F9
	v_mov_b32_dpp v67, v249 row_shl:8 row_mask:0xf bank_mask:0xf// 000000008F68: 7E8602FA FF0108F9
	v_mov_b32_e32 v68, v248                                    // 000000008F70: 7E8803F8
	v_mov_b32_e32 v69, v249                                    // 000000008F74: 7E8A03F9
	v_cndmask_b32_e64 v248, v68, v64, s[42:43]                 // 000000008F78: D10000F8 00AA8144
	v_cndmask_b32_e64 v250, v68, v65, s[78:79]                 // 000000008F80: D10000FA 013A8344
	v_cndmask_b32_e64 v249, v69, v66, s[42:43]                 // 000000008F88: D10000F9 00AA8545
	v_cndmask_b32_e64 v251, v69, v67, s[78:79]                 // 000000008F90: D10000FB 013A8745
	v_mov_b32_dpp v64, v58 row_shr:4 row_mask:0xf bank_mask:0xf// 000000008F98: 7E8002FA FF01143A
	v_mov_b32_dpp v65, v58 row_shl:4 row_mask:0xf bank_mask:0xf// 000000008FA0: 7E8202FA FF01043A
	v_cndmask_b32_e64 v252, v58, v64, s[44:45]                 // 000000008FA8: D10000FC 00B2813A
	v_cndmask_b32_e64 v253, v65, v58, s[44:45]                 // 000000008FB0: D10000FD 00B27541
	v_mov_b32_dpp v64, v252 row_shr:8 row_mask:0xf bank_mask:0xf// 000000008FB8: 7E8002FA FF0118FC
	v_mov_b32_dpp v65, v252 row_shl:8 row_mask:0xf bank_mask:0xf// 000000008FC0: 7E8202FA FF0108FC
	v_mov_b32_dpp v66, v253 row_shr:8 row_mask:0xf bank_mask:0xf// 000000008FC8: 7E8402FA FF0118FD
	v_mov_b32_dpp v67, v253 row_shl:8 row_mask:0xf bank_mask:0xf// 000000008FD0: 7E8602FA FF0108FD
	v_mov_b32_e32 v68, v252                                    // 000000008FD8: 7E8803FC
	v_mov_b32_e32 v69, v253                                    // 000000008FDC: 7E8A03FD
	v_cndmask_b32_e64 v252, v68, v64, s[42:43]                 // 000000008FE0: D10000FC 00AA8144
	v_cndmask_b32_e64 v254, v68, v65, s[78:79]                 // 000000008FE8: D10000FE 013A8344
	v_cndmask_b32_e64 v253, v69, v66, s[42:43]                 // 000000008FF0: D10000FD 00AA8545
	v_cndmask_b32_e64 v255, v69, v67, s[78:79]                 // 000000008FF8: D10000FF 013A8745
	buffer_load_dword v57, v55, s[36:39], 0 offen              // 000000009000: E0501000 80093937
	v_mul_f32_e32 v112, v18, v112                              // 000000009008: 0AE0E112
	v_mul_f32_e32 v113, v18, v113                              // 00000000900C: 0AE2E312
	v_mul_f32_e32 v114, v18, v114                              // 000000009010: 0AE4E512
	v_mul_f32_e32 v115, v18, v115                              // 000000009014: 0AE6E712
	v_mul_f32_e32 v116, v18, v116                              // 000000009018: 0AE8E912
	v_mul_f32_e32 v117, v18, v117                              // 00000000901C: 0AEAEB12
	v_mul_f32_e32 v118, v18, v118                              // 000000009020: 0AECED12
	v_mul_f32_e32 v119, v18, v119                              // 000000009024: 0AEEEF12
	v_mul_f32_e32 v120, v18, v120                              // 000000009028: 0AF0F112
	v_mul_f32_e32 v121, v18, v121                              // 00000000902C: 0AF2F312
	v_mul_f32_e32 v122, v18, v122                              // 000000009030: 0AF4F512
	v_mul_f32_e32 v123, v18, v123                              // 000000009034: 0AF6F712
	v_mul_f32_e32 v124, v18, v124                              // 000000009038: 0AF8F912
	v_mul_f32_e32 v125, v18, v125                              // 00000000903C: 0AFAFB12
	v_mul_f32_e32 v126, v18, v126                              // 000000009040: 0AFCFD12
	v_mul_f32_e32 v127, v18, v127                              // 000000009044: 0AFEFF12
	buffer_load_dwordx4 a[16:19], v24, s[16:19], 0 offen       // 000000009048: E05C1000 80841018
	v_mul_f32_dpp v112, v248, v112 quad_perm:[0,0,0,0] row_mask:0xf bank_mask:0xf// 000000009050: 0AE0E0FA FF0000F8
	v_mul_f32_dpp v113, v248, v113 quad_perm:[1,1,1,1] row_mask:0xf bank_mask:0xf// 000000009058: 0AE2E2FA FF0055F8
	v_mul_f32_dpp v114, v248, v114 quad_perm:[2,2,2,2] row_mask:0xf bank_mask:0xf// 000000009060: 0AE4E4FA FF00AAF8
	v_mul_f32_dpp v115, v248, v115 quad_perm:[3,3,3,3] row_mask:0xf bank_mask:0xf// 000000009068: 0AE6E6FA FF00FFF8
	v_mul_f32_dpp v116, v249, v116 quad_perm:[0,0,0,0] row_mask:0xf bank_mask:0xf// 000000009070: 0AE8E8FA FF0000F9
	v_mul_f32_dpp v117, v249, v117 quad_perm:[1,1,1,1] row_mask:0xf bank_mask:0xf// 000000009078: 0AEAEAFA FF0055F9
	v_mul_f32_dpp v118, v249, v118 quad_perm:[2,2,2,2] row_mask:0xf bank_mask:0xf// 000000009080: 0AECECFA FF00AAF9
	v_mul_f32_dpp v119, v249, v119 quad_perm:[3,3,3,3] row_mask:0xf bank_mask:0xf// 000000009088: 0AEEEEFA FF00FFF9
	v_mul_f32_dpp v120, v250, v120 quad_perm:[0,0,0,0] row_mask:0xf bank_mask:0xf// 000000009090: 0AF0F0FA FF0000FA
	v_mul_f32_dpp v121, v250, v121 quad_perm:[1,1,1,1] row_mask:0xf bank_mask:0xf// 000000009098: 0AF2F2FA FF0055FA
	v_mul_f32_dpp v122, v250, v122 quad_perm:[2,2,2,2] row_mask:0xf bank_mask:0xf// 0000000090A0: 0AF4F4FA FF00AAFA
	v_mul_f32_dpp v123, v250, v123 quad_perm:[3,3,3,3] row_mask:0xf bank_mask:0xf// 0000000090A8: 0AF6F6FA FF00FFFA
	v_mul_f32_dpp v124, v251, v124 quad_perm:[0,0,0,0] row_mask:0xf bank_mask:0xf// 0000000090B0: 0AF8F8FA FF0000FB
	v_mul_f32_dpp v125, v251, v125 quad_perm:[1,1,1,1] row_mask:0xf bank_mask:0xf// 0000000090B8: 0AFAFAFA FF0055FB
	v_mul_f32_dpp v126, v251, v126 quad_perm:[2,2,2,2] row_mask:0xf bank_mask:0xf// 0000000090C0: 0AFCFCFA FF00AAFB
	v_mul_f32_dpp v127, v251, v127 quad_perm:[3,3,3,3] row_mask:0xf bank_mask:0xf// 0000000090C8: 0AFEFEFA FF00FFFB
	buffer_load_dwordx4 a[20:23], v24, s[16:19], 0 offen offset:1024// 0000000090D0: E05C1400 80841418
	s_cmp_le_i32 s90, s89                                      // 0000000090D8: BF05595A
	s_cbranch_scc1 label_1C29                                  // 0000000090DC: BF850071
	v_mov_b32_e32 v66, 0xff800000                              // 0000000090E0: 7E8402FF FF800000
	s_mov_b32 s60, s90                                         // 0000000090E8: BEBC005A
	s_add_u32 s61, s89, 0xff                                   // 0000000090EC: 803DFF59 000000FF
	v_mov_b32_e32 v64, s61                                     // 0000000090F4: 7E80023D
	v_lshrrev_b32_e32 v240, 4, v0                              // 0000000090F8: 21E00084
	v_mul_i32_i24_e32 v240, 4, v240                            // 0000000090FC: 0DE1E084
	v_add_u32_e32 v240, s60, v240                              // 000000009100: 69E1E03C
	s_mov_b32 s61, 0                                           // 000000009104: BEBD0080
	s_mul_i32 s60, 16, s7                                      // 000000009108: 923C0790
	v_sub_u32_e64 v240, v240, s61                              // 00000000910C: D13500F0 00007BF0
	v_add_u32_e32 v240, s60, v240                              // 000000009114: 69E1E03C
	v_add_u32_e32 v241, 1, v240                                // 000000009118: 69E3E081
	v_add_u32_e32 v242, 2, v240                                // 00000000911C: 69E5E082
	v_add_u32_e32 v243, 3, v240                                // 000000009120: 69E7E083
	v_cmp_le_u32_e64 s[40:41], v240, v64                       // 000000009124: D0CB0028 000281F0
	v_add_u32_e32 v240, 64, v240                               // 00000000912C: 69E1E0C0
	s_nop 0                                                    // 000000009130: BF800000
	v_cndmask_b32_e64 v112, v66, v112, s[40:41]                // 000000009134: D1000070 00A2E142
	v_cmp_le_u32_e64 s[40:41], v241, v64                       // 00000000913C: D0CB0028 000281F1
	v_add_u32_e32 v241, 64, v241                               // 000000009144: 69E3E2C0
	s_nop 0                                                    // 000000009148: BF800000
	v_cndmask_b32_e64 v113, v66, v113, s[40:41]                // 00000000914C: D1000071 00A2E342
	v_cmp_le_u32_e64 s[40:41], v242, v64                       // 000000009154: D0CB0028 000281F2
	v_add_u32_e32 v242, 64, v242                               // 00000000915C: 69E5E4C0
	s_nop 0                                                    // 000000009160: BF800000
	v_cndmask_b32_e64 v114, v66, v114, s[40:41]                // 000000009164: D1000072 00A2E542
	v_cmp_le_u32_e64 s[40:41], v243, v64                       // 00000000916C: D0CB0028 000281F3
	v_add_u32_e32 v243, 64, v243                               // 000000009174: 69E7E6C0
	s_nop 0                                                    // 000000009178: BF800000
	v_cndmask_b32_e64 v115, v66, v115, s[40:41]                // 00000000917C: D1000073 00A2E742
	v_cmp_le_u32_e64 s[40:41], v240, v64                       // 000000009184: D0CB0028 000281F0
	v_add_u32_e32 v240, 64, v240                               // 00000000918C: 69E1E0C0
	s_nop 0                                                    // 000000009190: BF800000
	v_cndmask_b32_e64 v116, v66, v116, s[40:41]                // 000000009194: D1000074 00A2E942
	v_cmp_le_u32_e64 s[40:41], v241, v64                       // 00000000919C: D0CB0028 000281F1
	v_add_u32_e32 v241, 64, v241                               // 0000000091A4: 69E3E2C0
	s_nop 0                                                    // 0000000091A8: BF800000
	v_cndmask_b32_e64 v117, v66, v117, s[40:41]                // 0000000091AC: D1000075 00A2EB42
	v_cmp_le_u32_e64 s[40:41], v242, v64                       // 0000000091B4: D0CB0028 000281F2
	v_add_u32_e32 v242, 64, v242                               // 0000000091BC: 69E5E4C0
	s_nop 0                                                    // 0000000091C0: BF800000
	v_cndmask_b32_e64 v118, v66, v118, s[40:41]                // 0000000091C4: D1000076 00A2ED42
	v_cmp_le_u32_e64 s[40:41], v243, v64                       // 0000000091CC: D0CB0028 000281F3
	v_add_u32_e32 v243, 64, v243                               // 0000000091D4: 69E7E6C0
	s_nop 0                                                    // 0000000091D8: BF800000
	v_cndmask_b32_e64 v119, v66, v119, s[40:41]                // 0000000091DC: D1000077 00A2EF42
	v_cmp_le_u32_e64 s[40:41], v240, v64                       // 0000000091E4: D0CB0028 000281F0
	v_add_u32_e32 v240, 64, v240                               // 0000000091EC: 69E1E0C0
	s_nop 0                                                    // 0000000091F0: BF800000
	v_cndmask_b32_e64 v120, v66, v120, s[40:41]                // 0000000091F4: D1000078 00A2F142
	v_cmp_le_u32_e64 s[40:41], v241, v64                       // 0000000091FC: D0CB0028 000281F1
	v_add_u32_e32 v241, 64, v241                               // 000000009204: 69E3E2C0
	s_nop 0                                                    // 000000009208: BF800000
	v_cndmask_b32_e64 v121, v66, v121, s[40:41]                // 00000000920C: D1000079 00A2F342
	v_cmp_le_u32_e64 s[40:41], v242, v64                       // 000000009214: D0CB0028 000281F2
	v_add_u32_e32 v242, 64, v242                               // 00000000921C: 69E5E4C0
	s_nop 0                                                    // 000000009220: BF800000
	v_cndmask_b32_e64 v122, v66, v122, s[40:41]                // 000000009224: D100007A 00A2F542
	v_cmp_le_u32_e64 s[40:41], v243, v64                       // 00000000922C: D0CB0028 000281F3
	v_add_u32_e32 v243, 64, v243                               // 000000009234: 69E7E6C0
	s_nop 0                                                    // 000000009238: BF800000
	v_cndmask_b32_e64 v123, v66, v123, s[40:41]                // 00000000923C: D100007B 00A2F742
	v_cmp_le_u32_e64 s[40:41], v240, v64                       // 000000009244: D0CB0028 000281F0
	v_add_u32_e32 v240, 64, v240                               // 00000000924C: 69E1E0C0
	s_nop 0                                                    // 000000009250: BF800000
	v_cndmask_b32_e64 v124, v66, v124, s[40:41]                // 000000009254: D100007C 00A2F942
	v_cmp_le_u32_e64 s[40:41], v241, v64                       // 00000000925C: D0CB0028 000281F1
	v_add_u32_e32 v241, 64, v241                               // 000000009264: 69E3E2C0
	s_nop 0                                                    // 000000009268: BF800000
	v_cndmask_b32_e64 v125, v66, v125, s[40:41]                // 00000000926C: D100007D 00A2FB42
	v_cmp_le_u32_e64 s[40:41], v242, v64                       // 000000009274: D0CB0028 000281F2
	v_add_u32_e32 v242, 64, v242                               // 00000000927C: 69E5E4C0
	s_nop 0                                                    // 000000009280: BF800000
	v_cndmask_b32_e64 v126, v66, v126, s[40:41]                // 000000009284: D100007E 00A2FD42
	v_cmp_le_u32_e64 s[40:41], v243, v64                       // 00000000928C: D0CB0028 000281F3
	v_add_u32_e32 v243, 64, v243                               // 000000009294: 69E7E6C0
	s_nop 0                                                    // 000000009298: BF800000
	v_cndmask_b32_e64 v127, v66, v127, s[40:41]                // 00000000929C: D100007F 00A2FF42

00000000000092a4 <label_1C29>:
	v_mov_b32_e32 v48, v112                                    // 0000000092A4: 7E600370
	v_max3_f32 v48, v112, v113, v48                            // 0000000092A8: D1D30030 04C2E370
	v_max3_f32 v48, v114, v115, v48                            // 0000000092B0: D1D30030 04C2E772
	v_max3_f32 v48, v116, v117, v48                            // 0000000092B8: D1D30030 04C2EB74
	v_max3_f32 v48, v118, v119, v48                            // 0000000092C0: D1D30030 04C2EF76
	v_max3_f32 v48, v120, v121, v48                            // 0000000092C8: D1D30030 04C2F378
	v_max3_f32 v48, v122, v123, v48                            // 0000000092D0: D1D30030 04C2F77A
	v_max3_f32 v48, v124, v125, v48                            // 0000000092D8: D1D30030 04C2FB7C
	v_max3_f32 v48, v126, v127, v48                            // 0000000092E0: D1D30030 04C2FF7E
	ds_write_b32 v8, v48 offset:16896                          // 0000000092E8: D81A4200 00003008
	buffer_load_dwordx4 a[24:27], v25, s[16:19], 0 offen       // 0000000092F0: E05C1000 80841819
	v_mul_u32_u24_dpp v64, v16, v54 row_newbcast:1 row_mask:0xf bank_mask:0xf// 0000000092F8: 10806CFA FF015110
	v_mul_u32_u24_dpp v65, v16, v54 row_newbcast:5 row_mask:0xf bank_mask:0xf// 000000009300: 10826CFA FF015510
	v_mul_u32_u24_dpp v66, v16, v54 row_newbcast:9 row_mask:0xf bank_mask:0xf// 000000009308: 10846CFA FF015910
	v_mul_u32_u24_dpp v67, v16, v54 row_newbcast:13 row_mask:0xf bank_mask:0xf// 000000009310: 10866CFA FF015D10
	v_add_u32_e32 v30, v64, v6                                 // 000000009318: 683C0D40
	v_add_u32_e32 v31, v65, v6                                 // 00000000931C: 683E0D41
	v_add_u32_e32 v32, v66, v6                                 // 000000009320: 68400D42
	v_add_u32_e32 v33, v67, v6                                 // 000000009324: 68420D43
	v_mul_f32_e32 v208, v49, v208                              // 000000009328: 0BA1A131
	v_mul_f32_e32 v209, v49, v209                              // 00000000932C: 0BA3A331
	v_mul_f32_e32 v210, v49, v210                              // 000000009330: 0BA5A531
	v_mul_f32_e32 v211, v49, v211                              // 000000009334: 0BA7A731
	v_mul_f32_e32 v212, v49, v212                              // 000000009338: 0BA9A931
	v_mul_f32_e32 v213, v49, v213                              // 00000000933C: 0BABAB31
	v_mul_f32_e32 v214, v49, v214                              // 000000009340: 0BADAD31
	v_mul_f32_e32 v215, v49, v215                              // 000000009344: 0BAFAF31
	s_waitcnt lgkmcnt(0)                                       // 000000009348: BF8CC07F
	s_barrier                                                  // 00000000934C: BF8A0000
	ds_read_b32 v64, v7 offset:16896                           // 000000009350: D86C4200 40000007
	ds_read_b32 v65, v7 offset:16960                           // 000000009358: D86C4240 41000007
	ds_read_b32 v66, v7 offset:17024                           // 000000009360: D86C4280 42000007
	ds_read_b32 v67, v7 offset:17088                           // 000000009368: D86C42C0 43000007
	ds_read_b32 v68, v7 offset:17152                           // 000000009370: D86C4300 44000007
	ds_read_b32 v69, v7 offset:17216                           // 000000009378: D86C4340 45000007
	ds_read_b32 v70, v7 offset:17280                           // 000000009380: D86C4380 46000007
	ds_read_b32 v71, v7 offset:17344                           // 000000009388: D86C43C0 47000007
	ds_read_b32 v72, v7 offset:17408                           // 000000009390: D86C4400 48000007
	ds_read_b32 v73, v7 offset:17472                           // 000000009398: D86C4440 49000007
	ds_read_b32 v74, v7 offset:17536                           // 0000000093A0: D86C4480 4A000007
	ds_read_b32 v75, v7 offset:17600                           // 0000000093A8: D86C44C0 4B000007
	ds_read_b32 v76, v7 offset:17664                           // 0000000093B0: D86C4500 4C000007
	ds_read_b32 v77, v7 offset:17728                           // 0000000093B8: D86C4540 4D000007
	ds_read_b32 v78, v7 offset:17792                           // 0000000093C0: D86C4580 4E000007
	ds_read_b32 v79, v7 offset:17856                           // 0000000093C8: D86C45C0 4F000007
	buffer_load_dwordx4 a[28:31], v25, s[16:19], 0 offen offset:1024// 0000000093D0: E05C1400 80841C19
	v_mul_f32_e32 v176, v44, v176                              // 0000000093D8: 0B61612C
	v_mul_f32_e32 v177, v44, v177                              // 0000000093DC: 0B63632C
	v_mul_f32_e32 v178, v44, v178                              // 0000000093E0: 0B65652C
	v_mul_f32_e32 v179, v44, v179                              // 0000000093E4: 0B67672C
	v_mul_f32_e32 v180, v44, v180                              // 0000000093E8: 0B69692C
	v_mul_f32_e32 v181, v44, v181                              // 0000000093EC: 0B6B6B2C
	v_mul_f32_e32 v182, v44, v182                              // 0000000093F0: 0B6D6D2C
	v_mul_f32_e32 v183, v44, v183                              // 0000000093F4: 0B6F6F2C
	s_waitcnt lgkmcnt(0)                                       // 0000000093F8: BF8CC07F
	v_max3_f32 v48, v64, v65, v48                              // 0000000093FC: D1D30030 04C28340
	v_max3_f32 v48, v66, v67, v48                              // 000000009404: D1D30030 04C28742
	v_max3_f32 v48, v68, v69, v48                              // 00000000940C: D1D30030 04C28B44
	v_max3_f32 v48, v70, v71, v48                              // 000000009414: D1D30030 04C28F46
	v_max3_f32 v48, v72, v73, v48                              // 00000000941C: D1D30030 04C29348
	v_max3_f32 v48, v74, v75, v48                              // 000000009424: D1D30030 04C2974A
	v_max3_f32 v48, v76, v77, v48                              // 00000000942C: D1D30030 04C29B4C
	v_max3_f32 v48, v78, v79, v48                              // 000000009434: D1D30030 04C29F4E
	buffer_load_dwordx4 a[64:67], v30, s[20:23], 0 offen       // 00000000943C: E05C1000 8085401E
	v_mov_b32_e32 v64, 0xff800000                              // 000000009444: 7E8002FF FF800000
	v_cmp_eq_u32_e64 s[40:41], v64, v11                        // 00000000944C: D0CA0028 00021740
	s_nop 1                                                    // 000000009454: BF800001
	v_max_f32_e32 v15, v48, v11                                // 000000009458: 161E1730
	v_mul_f32_e32 v53, s64, v15                                // 00000000945C: 0A6A1E40
	v_fma_f32 v112, v112, s64, -v53                            // 000000009460: D1CB0070 84D48170
	v_fma_f32 v113, v113, s64, -v53                            // 000000009468: D1CB0071 84D48171
	v_fma_f32 v114, v114, s64, -v53                            // 000000009470: D1CB0072 84D48172
	v_fma_f32 v115, v115, s64, -v53                            // 000000009478: D1CB0073 84D48173
	v_fma_f32 v116, v116, s64, -v53                            // 000000009480: D1CB0074 84D48174
	v_fma_f32 v117, v117, s64, -v53                            // 000000009488: D1CB0075 84D48175
	v_fma_f32 v118, v118, s64, -v53                            // 000000009490: D1CB0076 84D48176
	v_fma_f32 v119, v119, s64, -v53                            // 000000009498: D1CB0077 84D48177
	v_fma_f32 v120, v120, s64, -v53                            // 0000000094A0: D1CB0078 84D48178
	v_fma_f32 v121, v121, s64, -v53                            // 0000000094A8: D1CB0079 84D48179
	v_fma_f32 v122, v122, s64, -v53                            // 0000000094B0: D1CB007A 84D4817A
	v_fma_f32 v123, v123, s64, -v53                            // 0000000094B8: D1CB007B 84D4817B
	v_fma_f32 v124, v124, s64, -v53                            // 0000000094C0: D1CB007C 84D4817C
	v_fma_f32 v125, v125, s64, -v53                            // 0000000094C8: D1CB007D 84D4817D
	v_fma_f32 v126, v126, s64, -v53                            // 0000000094D0: D1CB007E 84D4817E
	v_fma_f32 v127, v127, s64, -v53                            // 0000000094D8: D1CB007F 84D4817F
	buffer_load_dwordx4 a[68:71], v31, s[20:23], 0 offen       // 0000000094E0: E05C1000 8085441F
	v_exp_f32_e32 v112, v112                                   // 0000000094E8: 7EE04170
	v_exp_f32_e32 v113, v113                                   // 0000000094EC: 7EE24171
	v_exp_f32_e32 v114, v114                                   // 0000000094F0: 7EE44172
	v_exp_f32_e32 v115, v115                                   // 0000000094F4: 7EE64173
	v_exp_f32_e32 v116, v116                                   // 0000000094F8: 7EE84174
	v_exp_f32_e32 v117, v117                                   // 0000000094FC: 7EEA4175
	v_exp_f32_e32 v118, v118                                   // 000000009500: 7EEC4176
	v_exp_f32_e32 v119, v119                                   // 000000009504: 7EEE4177
	v_exp_f32_e32 v120, v120                                   // 000000009508: 7EF04178
	v_exp_f32_e32 v121, v121                                   // 00000000950C: 7EF24179
	v_exp_f32_e32 v122, v122                                   // 000000009510: 7EF4417A
	v_exp_f32_e32 v123, v123                                   // 000000009514: 7EF6417B
	v_exp_f32_e32 v124, v124                                   // 000000009518: 7EF8417C
	v_exp_f32_e32 v125, v125                                   // 00000000951C: 7EFA417D
	v_exp_f32_e32 v126, v126                                   // 000000009520: 7EFC417E
	v_exp_f32_e32 v127, v127                                   // 000000009524: 7EFE417F
	buffer_load_dwordx4 a[72:75], v32, s[20:23], 0 offen       // 000000009528: E05C1000 80854820
	v_mul_f32_dpp v240, v252, v112 quad_perm:[0,0,0,0] row_mask:0xf bank_mask:0xf// 000000009530: 0BE0E0FA FF0000FC
	v_mul_f32_dpp v241, v252, v113 quad_perm:[1,1,1,1] row_mask:0xf bank_mask:0xf// 000000009538: 0BE2E2FA FF0055FC
	v_mul_f32_dpp v242, v252, v114 quad_perm:[2,2,2,2] row_mask:0xf bank_mask:0xf// 000000009540: 0BE4E4FA FF00AAFC
	v_mul_f32_dpp v243, v252, v115 quad_perm:[3,3,3,3] row_mask:0xf bank_mask:0xf// 000000009548: 0BE6E6FA FF00FFFC
	v_mul_f32_dpp v244, v253, v116 quad_perm:[0,0,0,0] row_mask:0xf bank_mask:0xf// 000000009550: 0BE8E8FA FF0000FD
	v_mul_f32_dpp v245, v253, v117 quad_perm:[1,1,1,1] row_mask:0xf bank_mask:0xf// 000000009558: 0BEAEAFA FF0055FD
	v_mul_f32_dpp v246, v253, v118 quad_perm:[2,2,2,2] row_mask:0xf bank_mask:0xf// 000000009560: 0BECECFA FF00AAFD
	v_mul_f32_dpp v247, v253, v119 quad_perm:[3,3,3,3] row_mask:0xf bank_mask:0xf// 000000009568: 0BEEEEFA FF00FFFD
	v_mul_f32_dpp v248, v254, v120 quad_perm:[0,0,0,0] row_mask:0xf bank_mask:0xf// 000000009570: 0BF0F0FA FF0000FE
	v_mul_f32_dpp v249, v254, v121 quad_perm:[1,1,1,1] row_mask:0xf bank_mask:0xf// 000000009578: 0BF2F2FA FF0055FE
	v_mul_f32_dpp v250, v254, v122 quad_perm:[2,2,2,2] row_mask:0xf bank_mask:0xf// 000000009580: 0BF4F4FA FF00AAFE
	v_mul_f32_dpp v251, v254, v123 quad_perm:[3,3,3,3] row_mask:0xf bank_mask:0xf// 000000009588: 0BF6F6FA FF00FFFE
	v_mul_f32_dpp v252, v255, v124 quad_perm:[0,0,0,0] row_mask:0xf bank_mask:0xf// 000000009590: 0BF8F8FA FF0000FF
	v_mul_f32_dpp v253, v255, v125 quad_perm:[1,1,1,1] row_mask:0xf bank_mask:0xf// 000000009598: 0BFAFAFA FF0055FF
	v_mul_f32_dpp v254, v255, v126 quad_perm:[2,2,2,2] row_mask:0xf bank_mask:0xf// 0000000095A0: 0BFCFCFA FF00AAFF
	v_mul_f32_dpp v255, v255, v127 quad_perm:[3,3,3,3] row_mask:0xf bank_mask:0xf// 0000000095A8: 0BFEFEFA FF00FFFF
	v_mov_b32_e32 v48, 0x358637bd                              // 0000000095B0: 7E6002FF 358637BD
	v_max3_f32 v48, |v240|, |v241|, v48                        // 0000000095B8: D1D30330 04C3E3F0
	v_max3_f32 v48, |v242|, |v243|, v48                        // 0000000095C0: D1D30330 04C3E7F2
	v_max3_f32 v48, |v244|, |v245|, v48                        // 0000000095C8: D1D30330 04C3EBF4
	v_max3_f32 v48, |v246|, |v247|, v48                        // 0000000095D0: D1D30330 04C3EFF6
	v_max3_f32 v48, |v248|, |v249|, v48                        // 0000000095D8: D1D30330 04C3F3F8
	v_max3_f32 v48, |v250|, |v251|, v48                        // 0000000095E0: D1D30330 04C3F7FA
	v_max3_f32 v48, |v252|, |v253|, v48                        // 0000000095E8: D1D30330 04C3FBFC
	v_max3_f32 v48, |v254|, |v255|, v48                        // 0000000095F0: D1D30330 04C3FFFE
	buffer_load_dwordx4 a[76:79], v33, s[20:23], 0 offen       // 0000000095F8: E05C1000 80854C21
	ds_write_b32 v8, v48 offset:20992                          // 000000009600: D81A5200 00003008
	v_sub_f32_e32 v49, v11, v15                                // 000000009608: 04621F0B
	v_cndmask_b32_e64 v49, v49, 0, s[40:41]                    // 00000000960C: D1000031 00A10131
	v_mov_b32_e32 v11, v15                                     // 000000009614: 7E16030F
	v_mul_f32_e32 v49, s64, v49                                // 000000009618: 0A626240
	v_exp_f32_e32 v49, v49                                     // 00000000961C: 7E624131
	s_waitcnt lgkmcnt(0)                                       // 000000009620: BF8CC07F
	s_barrier                                                  // 000000009624: BF8A0000
	ds_read_b32 v64, v7 offset:20992                           // 000000009628: D86C5200 40000007
	ds_read_b32 v65, v7 offset:21056                           // 000000009630: D86C5240 41000007
	ds_read_b32 v66, v7 offset:21120                           // 000000009638: D86C5280 42000007
	ds_read_b32 v67, v7 offset:21184                           // 000000009640: D86C52C0 43000007
	ds_read_b32 v68, v7 offset:21248                           // 000000009648: D86C5300 44000007
	ds_read_b32 v69, v7 offset:21312                           // 000000009650: D86C5340 45000007
	ds_read_b32 v70, v7 offset:21376                           // 000000009658: D86C5380 46000007
	ds_read_b32 v71, v7 offset:21440                           // 000000009660: D86C53C0 47000007
	ds_read_b32 v72, v7 offset:21504                           // 000000009668: D86C5400 48000007
	ds_read_b32 v73, v7 offset:21568                           // 000000009670: D86C5440 49000007
	ds_read_b32 v74, v7 offset:21632                           // 000000009678: D86C5480 4A000007
	ds_read_b32 v75, v7 offset:21696                           // 000000009680: D86C54C0 4B000007
	ds_read_b32 v76, v7 offset:21760                           // 000000009688: D86C5500 4C000007
	ds_read_b32 v77, v7 offset:21824                           // 000000009690: D86C5540 4D000007
	ds_read_b32 v78, v7 offset:21888                           // 000000009698: D86C5580 4E000007
	ds_read_b32 v79, v7 offset:21952                           // 0000000096A0: D86C55C0 4F000007
	v_mul_f32_e32 v38, v49, v38                                // 0000000096A8: 0A4C4D31
	v_mov_b32_e32 v15, v112                                    // 0000000096AC: 7E1E0370
	v_add_f32_e32 v15, v113, v15                               // 0000000096B0: 021E1F71
	v_add_f32_e32 v15, v114, v15                               // 0000000096B4: 021E1F72
	v_add_f32_e32 v15, v115, v15                               // 0000000096B8: 021E1F73
	v_add_f32_e32 v15, v116, v15                               // 0000000096BC: 021E1F74
	v_add_f32_e32 v15, v117, v15                               // 0000000096C0: 021E1F75
	v_add_f32_e32 v15, v118, v15                               // 0000000096C4: 021E1F76
	v_add_f32_e32 v15, v119, v15                               // 0000000096C8: 021E1F77
	v_add_f32_e32 v15, v120, v15                               // 0000000096CC: 021E1F78
	v_add_f32_e32 v15, v121, v15                               // 0000000096D0: 021E1F79
	v_add_f32_e32 v15, v122, v15                               // 0000000096D4: 021E1F7A
	v_add_f32_e32 v15, v123, v15                               // 0000000096D8: 021E1F7B
	v_add_f32_e32 v15, v124, v15                               // 0000000096DC: 021E1F7C
	v_add_f32_e32 v15, v125, v15                               // 0000000096E0: 021E1F7D
	v_add_f32_e32 v15, v126, v15                               // 0000000096E4: 021E1F7E
	v_add_f32_e32 v15, v127, v15                               // 0000000096E8: 021E1F7F
	v_add_f32_e32 v38, v15, v38                                // 0000000096EC: 024C4D0F
	s_waitcnt lgkmcnt(0)                                       // 0000000096F0: BF8CC07F
	v_max3_f32 v48, |v64|, |v65|, v48                          // 0000000096F4: D1D30330 04C28340
	v_max3_f32 v48, |v66|, |v67|, v48                          // 0000000096FC: D1D30330 04C28742
	v_max3_f32 v48, |v68|, |v69|, v48                          // 000000009704: D1D30330 04C28B44
	v_max3_f32 v48, |v70|, |v71|, v48                          // 00000000970C: D1D30330 04C28F46
	v_max3_f32 v48, |v72|, |v73|, v48                          // 000000009714: D1D30330 04C29348
	v_max3_f32 v48, |v74|, |v75|, v48                          // 00000000971C: D1D30330 04C2974A
	v_max3_f32 v48, |v76|, |v77|, v48                          // 000000009724: D1D30330 04C29B4C
	v_max3_f32 v48, |v78|, |v79|, v48                          // 00000000972C: D1D30330 04C29F4E
	s_nop 2                                                    // 000000009734: BF800002
	v_rcp_f32_e32 v48, v48                                     // 000000009738: 7E604530
	s_nop 1                                                    // 00000000973C: BF800001
	v_mul_f32_e32 v48, 0x43700000, v48                         // 000000009740: 0A6060FF 43700000
	v_mul_f32_e32 v112, v48, v240                              // 000000009748: 0AE1E130
	v_mul_f32_e32 v113, v48, v241                              // 00000000974C: 0AE3E330
	v_mul_f32_e32 v114, v48, v242                              // 000000009750: 0AE5E530
	v_mul_f32_e32 v115, v48, v243                              // 000000009754: 0AE7E730
	v_mul_f32_e32 v116, v48, v244                              // 000000009758: 0AE9E930
	v_mul_f32_e32 v117, v48, v245                              // 00000000975C: 0AEBEB30
	v_mul_f32_e32 v118, v48, v246                              // 000000009760: 0AEDED30
	v_mul_f32_e32 v119, v48, v247                              // 000000009764: 0AEFEF30
	v_mul_f32_e32 v120, v48, v248                              // 000000009768: 0AF1F130
	v_mul_f32_e32 v121, v48, v249                              // 00000000976C: 0AF3F330
	v_mul_f32_e32 v122, v48, v250                              // 000000009770: 0AF5F530
	v_mul_f32_e32 v123, v48, v251                              // 000000009774: 0AF7F730
	v_mul_f32_e32 v124, v48, v252                              // 000000009778: 0AF9F930
	v_mul_f32_e32 v125, v48, v253                              // 00000000977C: 0AFBFB30
	v_mul_f32_e32 v126, v48, v254                              // 000000009780: 0AFDFD30
	v_mul_f32_e32 v127, v48, v255                              // 000000009784: 0AFFFF30
	v_cvt_pk_fp8_f32 v112, v112, v113                          // 000000009788: D2A20070 0002E370
	v_cvt_pk_fp8_f32 v112, v114, v115 op_sel:[0,0,1]           // 000000009790: D2A24070 0002E772
	v_cvt_pk_fp8_f32 v113, v116, v117                          // 000000009798: D2A20071 0002EB74
	v_cvt_pk_fp8_f32 v113, v118, v119 op_sel:[0,0,1]           // 0000000097A0: D2A24071 0002EF76
	v_cvt_pk_fp8_f32 v114, v120, v121                          // 0000000097A8: D2A20072 0002F378
	v_cvt_pk_fp8_f32 v114, v122, v123 op_sel:[0,0,1]           // 0000000097B0: D2A24072 0002F77A
	v_cvt_pk_fp8_f32 v115, v124, v125                          // 0000000097B8: D2A20073 0002FB7C
	v_cvt_pk_fp8_f32 v115, v126, v127 op_sel:[0,0,1]           // 0000000097C0: D2A24073 0002FF7E
	ds_write_b32 v10, v112 offset:25088                        // 0000000097C8: D81A6200 0000700A
	ds_write_b32 v10, v113 offset:26112                        // 0000000097D0: D81A6600 0000710A
	ds_write_b32 v10, v114 offset:27136                        // 0000000097D8: D81A6A00 0000720A
	ds_write_b32 v10, v115 offset:28160                        // 0000000097E0: D81A6E00 0000730A
	v_add_f32_e32 v208, v208, v176                             // 0000000097E8: 03A161D0
	v_add_f32_e32 v209, v209, v177                             // 0000000097EC: 03A363D1
	v_add_f32_e32 v210, v210, v178                             // 0000000097F0: 03A565D2
	v_add_f32_e32 v211, v211, v179                             // 0000000097F4: 03A767D3
	v_add_f32_e32 v212, v212, v180                             // 0000000097F8: 03A969D4
	v_add_f32_e32 v213, v213, v181                             // 0000000097FC: 03AB6BD5
	v_add_f32_e32 v214, v214, v182                             // 000000009800: 03AD6DD6
	v_add_f32_e32 v215, v215, v183                             // 000000009804: 03AF6FD7
	v_rcp_f32_e32 v44, v48                                     // 000000009808: 7E584530
	s_waitcnt lgkmcnt(0)                                       // 00000000980C: BF8CC07F
	s_barrier                                                  // 000000009810: BF8A0000
	ds_read_b64 v[112:113], v9 offset:25088                    // 000000009814: D8EC6200 70000009
	ds_read_b64 v[114:115], v9 offset:25216                    // 00000000981C: D8EC6280 72000009
	ds_read_b64 v[116:117], v9 offset:26112                    // 000000009824: D8EC6600 74000009
	ds_read_b64 v[118:119], v9 offset:26240                    // 00000000982C: D8EC6680 76000009
	ds_read_b64 v[120:121], v9 offset:27136                    // 000000009834: D8EC6A00 78000009
	ds_read_b64 v[122:123], v9 offset:27264                    // 00000000983C: D8EC6A80 7A000009
	ds_read_b64 v[124:125], v9 offset:28160                    // 000000009844: D8EC6E00 7C000009
	ds_read_b64 v[126:127], v9 offset:28288                    // 00000000984C: D8EC6E80 7E000009
	v_mov_b32_dpp v64, v43 row_shr:4 row_mask:0xf bank_mask:0xf// 000000009854: 7E8002FA FF01142B
	v_mov_b32_dpp v65, v43 row_shl:4 row_mask:0xf bank_mask:0xf// 00000000985C: 7E8202FA FF01042B
	v_cndmask_b32_e64 v248, v43, v64, s[44:45]                 // 000000009864: D10000F8 00B2812B
	v_cndmask_b32_e64 v249, v65, v43, s[44:45]                 // 00000000986C: D10000F9 00B25741
	v_mov_b32_dpp v64, v248 row_shr:8 row_mask:0xf bank_mask:0xf// 000000009874: 7E8002FA FF0118F8
	v_mov_b32_dpp v65, v248 row_shl:8 row_mask:0xf bank_mask:0xf// 00000000987C: 7E8202FA FF0108F8
	v_mov_b32_dpp v66, v249 row_shr:8 row_mask:0xf bank_mask:0xf// 000000009884: 7E8402FA FF0118F9
	v_mov_b32_dpp v67, v249 row_shl:8 row_mask:0xf bank_mask:0xf// 00000000988C: 7E8602FA FF0108F9
	v_mov_b32_e32 v68, v248                                    // 000000009894: 7E8803F8
	v_mov_b32_e32 v69, v249                                    // 000000009898: 7E8A03F9
	v_cndmask_b32_e64 v248, v68, v64, s[42:43]                 // 00000000989C: D10000F8 00AA8144
	v_cndmask_b32_e64 v250, v68, v65, s[78:79]                 // 0000000098A4: D10000FA 013A8344
	v_cndmask_b32_e64 v249, v69, v66, s[42:43]                 // 0000000098AC: D10000F9 00AA8545
	v_cndmask_b32_e64 v251, v69, v67, s[78:79]                 // 0000000098B4: D10000FB 013A8745
	v_mov_b32_dpp v64, v58 row_shr:4 row_mask:0xf bank_mask:0xf// 0000000098BC: 7E8002FA FF01143A
	v_mov_b32_dpp v65, v58 row_shl:4 row_mask:0xf bank_mask:0xf// 0000000098C4: 7E8202FA FF01043A
	v_cndmask_b32_e64 v252, v58, v64, s[44:45]                 // 0000000098CC: D10000FC 00B2813A
	v_cndmask_b32_e64 v253, v65, v58, s[44:45]                 // 0000000098D4: D10000FD 00B27541
	v_mov_b32_dpp v64, v252 row_shr:8 row_mask:0xf bank_mask:0xf// 0000000098DC: 7E8002FA FF0118FC
	v_mov_b32_dpp v65, v252 row_shl:8 row_mask:0xf bank_mask:0xf// 0000000098E4: 7E8202FA FF0108FC
	v_mov_b32_dpp v66, v253 row_shr:8 row_mask:0xf bank_mask:0xf// 0000000098EC: 7E8402FA FF0118FD
	v_mov_b32_dpp v67, v253 row_shl:8 row_mask:0xf bank_mask:0xf// 0000000098F4: 7E8602FA FF0108FD
	v_mov_b32_e32 v68, v252                                    // 0000000098FC: 7E8803FC
	v_mov_b32_e32 v69, v253                                    // 000000009900: 7E8A03FD
	v_cndmask_b32_e64 v252, v68, v64, s[42:43]                 // 000000009904: D10000FC 00AA8144
	v_cndmask_b32_e64 v254, v68, v65, s[78:79]                 // 00000000990C: D10000FE 013A8344
	v_cndmask_b32_e64 v253, v69, v66, s[42:43]                 // 000000009914: D10000FD 00AA8545
	v_cndmask_b32_e64 v255, v69, v67, s[78:79]                 // 00000000991C: D10000FF 013A8745
	v_mul_f32_e32 v128, v19, v128                              // 000000009924: 0B010113
	v_mul_f32_e32 v129, v19, v129                              // 000000009928: 0B030313
	v_mul_f32_e32 v130, v19, v130                              // 00000000992C: 0B050513
	v_mul_f32_e32 v131, v19, v131                              // 000000009930: 0B070713
	v_mul_f32_e32 v132, v19, v132                              // 000000009934: 0B090913
	v_mul_f32_e32 v133, v19, v133                              // 000000009938: 0B0B0B13
	v_mul_f32_e32 v134, v19, v134                              // 00000000993C: 0B0D0D13
	v_mul_f32_e32 v135, v19, v135                              // 000000009940: 0B0F0F13
	v_mul_f32_e32 v136, v19, v136                              // 000000009944: 0B111113
	v_mul_f32_e32 v137, v19, v137                              // 000000009948: 0B131313
	v_mul_f32_e32 v138, v19, v138                              // 00000000994C: 0B151513
	v_mul_f32_e32 v139, v19, v139                              // 000000009950: 0B171713
	v_mul_f32_e32 v140, v19, v140                              // 000000009954: 0B191913
	v_mul_f32_e32 v141, v19, v141                              // 000000009958: 0B1B1B13
	v_mul_f32_e32 v142, v19, v142                              // 00000000995C: 0B1D1D13
	v_mul_f32_e32 v143, v19, v143                              // 000000009960: 0B1F1F13
	v_mul_f32_dpp v128, v248, v128 quad_perm:[0,0,0,0] row_mask:0xf bank_mask:0xf// 000000009964: 0B0100FA FF0000F8
	v_mul_f32_dpp v129, v248, v129 quad_perm:[1,1,1,1] row_mask:0xf bank_mask:0xf// 00000000996C: 0B0302FA FF0055F8
	v_mul_f32_dpp v130, v248, v130 quad_perm:[2,2,2,2] row_mask:0xf bank_mask:0xf// 000000009974: 0B0504FA FF00AAF8
	v_mul_f32_dpp v131, v248, v131 quad_perm:[3,3,3,3] row_mask:0xf bank_mask:0xf// 00000000997C: 0B0706FA FF00FFF8
	v_mul_f32_dpp v132, v249, v132 quad_perm:[0,0,0,0] row_mask:0xf bank_mask:0xf// 000000009984: 0B0908FA FF0000F9
	v_mul_f32_dpp v133, v249, v133 quad_perm:[1,1,1,1] row_mask:0xf bank_mask:0xf// 00000000998C: 0B0B0AFA FF0055F9
	v_mul_f32_dpp v134, v249, v134 quad_perm:[2,2,2,2] row_mask:0xf bank_mask:0xf// 000000009994: 0B0D0CFA FF00AAF9
	v_mul_f32_dpp v135, v249, v135 quad_perm:[3,3,3,3] row_mask:0xf bank_mask:0xf// 00000000999C: 0B0F0EFA FF00FFF9
	v_mul_f32_dpp v136, v250, v136 quad_perm:[0,0,0,0] row_mask:0xf bank_mask:0xf// 0000000099A4: 0B1110FA FF0000FA
	v_mul_f32_dpp v137, v250, v137 quad_perm:[1,1,1,1] row_mask:0xf bank_mask:0xf// 0000000099AC: 0B1312FA FF0055FA
	v_mul_f32_dpp v138, v250, v138 quad_perm:[2,2,2,2] row_mask:0xf bank_mask:0xf// 0000000099B4: 0B1514FA FF00AAFA
	v_mul_f32_dpp v139, v250, v139 quad_perm:[3,3,3,3] row_mask:0xf bank_mask:0xf// 0000000099BC: 0B1716FA FF00FFFA
	v_mul_f32_dpp v140, v251, v140 quad_perm:[0,0,0,0] row_mask:0xf bank_mask:0xf// 0000000099C4: 0B1918FA FF0000FB
	v_mul_f32_dpp v141, v251, v141 quad_perm:[1,1,1,1] row_mask:0xf bank_mask:0xf// 0000000099CC: 0B1B1AFA FF0055FB
	v_mul_f32_dpp v142, v251, v142 quad_perm:[2,2,2,2] row_mask:0xf bank_mask:0xf// 0000000099D4: 0B1D1CFA FF00AAFB
	v_mul_f32_dpp v143, v251, v143 quad_perm:[3,3,3,3] row_mask:0xf bank_mask:0xf// 0000000099DC: 0B1F1EFA FF00FFFB
	s_cmp_le_i32 s90, s89                                      // 0000000099E4: BF05595A
	s_cbranch_scc1 label_1E6C                                  // 0000000099E8: BF850071
	v_mov_b32_e32 v66, 0xff800000                              // 0000000099EC: 7E8402FF FF800000
	s_mov_b32 s60, s90                                         // 0000000099F4: BEBC005A
	s_add_u32 s61, s89, 0xff                                   // 0000000099F8: 803DFF59 000000FF
	v_mov_b32_e32 v64, s61                                     // 000000009A00: 7E80023D
	v_lshrrev_b32_e32 v240, 4, v0                              // 000000009A04: 21E00084
	v_mul_i32_i24_e32 v240, 4, v240                            // 000000009A08: 0DE1E084
	v_add_u32_e32 v240, s60, v240                              // 000000009A0C: 69E1E03C
	s_mov_b32 s61, 1                                           // 000000009A10: BEBD0081
	s_mul_i32 s60, 16, s7                                      // 000000009A14: 923C0790
	v_sub_u32_e64 v240, v240, s61                              // 000000009A18: D13500F0 00007BF0
	v_add_u32_e32 v240, s60, v240                              // 000000009A20: 69E1E03C
	v_add_u32_e32 v241, 1, v240                                // 000000009A24: 69E3E081
	v_add_u32_e32 v242, 2, v240                                // 000000009A28: 69E5E082
	v_add_u32_e32 v243, 3, v240                                // 000000009A2C: 69E7E083
	v_cmp_le_u32_e64 s[40:41], v240, v64                       // 000000009A30: D0CB0028 000281F0
	v_add_u32_e32 v240, 64, v240                               // 000000009A38: 69E1E0C0
	s_nop 0                                                    // 000000009A3C: BF800000
	v_cndmask_b32_e64 v128, v66, v128, s[40:41]                // 000000009A40: D1000080 00A30142
	v_cmp_le_u32_e64 s[40:41], v241, v64                       // 000000009A48: D0CB0028 000281F1
	v_add_u32_e32 v241, 64, v241                               // 000000009A50: 69E3E2C0
	s_nop 0                                                    // 000000009A54: BF800000
	v_cndmask_b32_e64 v129, v66, v129, s[40:41]                // 000000009A58: D1000081 00A30342
	v_cmp_le_u32_e64 s[40:41], v242, v64                       // 000000009A60: D0CB0028 000281F2
	v_add_u32_e32 v242, 64, v242                               // 000000009A68: 69E5E4C0
	s_nop 0                                                    // 000000009A6C: BF800000
	v_cndmask_b32_e64 v130, v66, v130, s[40:41]                // 000000009A70: D1000082 00A30542
	v_cmp_le_u32_e64 s[40:41], v243, v64                       // 000000009A78: D0CB0028 000281F3
	v_add_u32_e32 v243, 64, v243                               // 000000009A80: 69E7E6C0
	s_nop 0                                                    // 000000009A84: BF800000
	v_cndmask_b32_e64 v131, v66, v131, s[40:41]                // 000000009A88: D1000083 00A30742
	v_cmp_le_u32_e64 s[40:41], v240, v64                       // 000000009A90: D0CB0028 000281F0
	v_add_u32_e32 v240, 64, v240                               // 000000009A98: 69E1E0C0
	s_nop 0                                                    // 000000009A9C: BF800000
	v_cndmask_b32_e64 v132, v66, v132, s[40:41]                // 000000009AA0: D1000084 00A30942
	v_cmp_le_u32_e64 s[40:41], v241, v64                       // 000000009AA8: D0CB0028 000281F1
	v_add_u32_e32 v241, 64, v241                               // 000000009AB0: 69E3E2C0
	s_nop 0                                                    // 000000009AB4: BF800000
	v_cndmask_b32_e64 v133, v66, v133, s[40:41]                // 000000009AB8: D1000085 00A30B42
	v_cmp_le_u32_e64 s[40:41], v242, v64                       // 000000009AC0: D0CB0028 000281F2
	v_add_u32_e32 v242, 64, v242                               // 000000009AC8: 69E5E4C0
	s_nop 0                                                    // 000000009ACC: BF800000
	v_cndmask_b32_e64 v134, v66, v134, s[40:41]                // 000000009AD0: D1000086 00A30D42
	v_cmp_le_u32_e64 s[40:41], v243, v64                       // 000000009AD8: D0CB0028 000281F3
	v_add_u32_e32 v243, 64, v243                               // 000000009AE0: 69E7E6C0
	s_nop 0                                                    // 000000009AE4: BF800000
	v_cndmask_b32_e64 v135, v66, v135, s[40:41]                // 000000009AE8: D1000087 00A30F42
	v_cmp_le_u32_e64 s[40:41], v240, v64                       // 000000009AF0: D0CB0028 000281F0
	v_add_u32_e32 v240, 64, v240                               // 000000009AF8: 69E1E0C0
	s_nop 0                                                    // 000000009AFC: BF800000
	v_cndmask_b32_e64 v136, v66, v136, s[40:41]                // 000000009B00: D1000088 00A31142
	v_cmp_le_u32_e64 s[40:41], v241, v64                       // 000000009B08: D0CB0028 000281F1
	v_add_u32_e32 v241, 64, v241                               // 000000009B10: 69E3E2C0
	s_nop 0                                                    // 000000009B14: BF800000
	v_cndmask_b32_e64 v137, v66, v137, s[40:41]                // 000000009B18: D1000089 00A31342
	v_cmp_le_u32_e64 s[40:41], v242, v64                       // 000000009B20: D0CB0028 000281F2
	v_add_u32_e32 v242, 64, v242                               // 000000009B28: 69E5E4C0
	s_nop 0                                                    // 000000009B2C: BF800000
	v_cndmask_b32_e64 v138, v66, v138, s[40:41]                // 000000009B30: D100008A 00A31542
	v_cmp_le_u32_e64 s[40:41], v243, v64                       // 000000009B38: D0CB0028 000281F3
	v_add_u32_e32 v243, 64, v243                               // 000000009B40: 69E7E6C0
	s_nop 0                                                    // 000000009B44: BF800000
	v_cndmask_b32_e64 v139, v66, v139, s[40:41]                // 000000009B48: D100008B 00A31742
	v_cmp_le_u32_e64 s[40:41], v240, v64                       // 000000009B50: D0CB0028 000281F0
	v_add_u32_e32 v240, 64, v240                               // 000000009B58: 69E1E0C0
	s_nop 0                                                    // 000000009B5C: BF800000
	v_cndmask_b32_e64 v140, v66, v140, s[40:41]                // 000000009B60: D100008C 00A31942
	v_cmp_le_u32_e64 s[40:41], v241, v64                       // 000000009B68: D0CB0028 000281F1
	v_add_u32_e32 v241, 64, v241                               // 000000009B70: 69E3E2C0
	s_nop 0                                                    // 000000009B74: BF800000
	v_cndmask_b32_e64 v141, v66, v141, s[40:41]                // 000000009B78: D100008D 00A31B42
	v_cmp_le_u32_e64 s[40:41], v242, v64                       // 000000009B80: D0CB0028 000281F2
	v_add_u32_e32 v242, 64, v242                               // 000000009B88: 69E5E4C0
	s_nop 0                                                    // 000000009B8C: BF800000
	v_cndmask_b32_e64 v142, v66, v142, s[40:41]                // 000000009B90: D100008E 00A31D42
	v_cmp_le_u32_e64 s[40:41], v243, v64                       // 000000009B98: D0CB0028 000281F3
	v_add_u32_e32 v243, 64, v243                               // 000000009BA0: 69E7E6C0
	s_nop 0                                                    // 000000009BA4: BF800000
	v_cndmask_b32_e64 v143, v66, v143, s[40:41]                // 000000009BA8: D100008F 00A31F42

0000000000009bb0 <label_1E6C>:
	s_add_u32 s90, s91, s90                                    // 000000009BB0: 805A5A5B
	v_mov_b32_e32 v48, v128                                    // 000000009BB4: 7E600380
	v_max3_f32 v48, v128, v129, v48                            // 000000009BB8: D1D30030 04C30380
	v_max3_f32 v48, v130, v131, v48                            // 000000009BC0: D1D30030 04C30782
	v_max3_f32 v48, v132, v133, v48                            // 000000009BC8: D1D30030 04C30B84
	v_max3_f32 v48, v134, v135, v48                            // 000000009BD0: D1D30030 04C30F86
	v_max3_f32 v48, v136, v137, v48                            // 000000009BD8: D1D30030 04C31388
	v_max3_f32 v48, v138, v139, v48                            // 000000009BE0: D1D30030 04C3178A
	v_max3_f32 v48, v140, v141, v48                            // 000000009BE8: D1D30030 04C31B8C
	v_max3_f32 v48, v142, v143, v48                            // 000000009BF0: D1D30030 04C31F8E
	ds_write_b32 v8, v48 offset:16896                          // 000000009BF8: D81A4200 00003008
	v_mul_f32_e32 v216, v50, v216                              // 000000009C00: 0BB1B132
	v_mul_f32_e32 v217, v50, v217                              // 000000009C04: 0BB3B332
	v_mul_f32_e32 v218, v50, v218                              // 000000009C08: 0BB5B532
	v_mul_f32_e32 v219, v50, v219                              // 000000009C0C: 0BB7B732
	v_mul_f32_e32 v220, v50, v220                              // 000000009C10: 0BB9B932
	v_mul_f32_e32 v221, v50, v221                              // 000000009C14: 0BBBBB32
	v_mul_f32_e32 v222, v50, v222                              // 000000009C18: 0BBDBD32
	v_mul_f32_e32 v223, v50, v223                              // 000000009C1C: 0BBFBF32
	s_waitcnt lgkmcnt(0)                                       // 000000009C20: BF8CC07F
	s_barrier                                                  // 000000009C24: BF8A0000
	ds_read_b32 v64, v7 offset:16896                           // 000000009C28: D86C4200 40000007
	ds_read_b32 v65, v7 offset:16960                           // 000000009C30: D86C4240 41000007
	ds_read_b32 v66, v7 offset:17024                           // 000000009C38: D86C4280 42000007
	ds_read_b32 v67, v7 offset:17088                           // 000000009C40: D86C42C0 43000007
	ds_read_b32 v68, v7 offset:17152                           // 000000009C48: D86C4300 44000007
	ds_read_b32 v69, v7 offset:17216                           // 000000009C50: D86C4340 45000007
	ds_read_b32 v70, v7 offset:17280                           // 000000009C58: D86C4380 46000007
	ds_read_b32 v71, v7 offset:17344                           // 000000009C60: D86C43C0 47000007
	ds_read_b32 v72, v7 offset:17408                           // 000000009C68: D86C4400 48000007
	ds_read_b32 v73, v7 offset:17472                           // 000000009C70: D86C4440 49000007
	ds_read_b32 v74, v7 offset:17536                           // 000000009C78: D86C4480 4A000007
	ds_read_b32 v75, v7 offset:17600                           // 000000009C80: D86C44C0 4B000007
	ds_read_b32 v76, v7 offset:17664                           // 000000009C88: D86C4500 4C000007
	ds_read_b32 v77, v7 offset:17728                           // 000000009C90: D86C4540 4D000007
	ds_read_b32 v78, v7 offset:17792                           // 000000009C98: D86C4580 4E000007
	ds_read_b32 v79, v7 offset:17856                           // 000000009CA0: D86C45C0 4F000007
	v_mul_f32_e32 v184, v45, v184                              // 000000009CA8: 0B71712D
	v_mul_f32_e32 v185, v45, v185                              // 000000009CAC: 0B73732D
	v_mul_f32_e32 v186, v45, v186                              // 000000009CB0: 0B75752D
	v_mul_f32_e32 v187, v45, v187                              // 000000009CB4: 0B77772D
	v_mul_f32_e32 v188, v45, v188                              // 000000009CB8: 0B79792D
	v_mul_f32_e32 v189, v45, v189                              // 000000009CBC: 0B7B7B2D
	v_mul_f32_e32 v190, v45, v190                              // 000000009CC0: 0B7D7D2D
	v_mul_f32_e32 v191, v45, v191                              // 000000009CC4: 0B7F7F2D
	s_waitcnt lgkmcnt(0)                                       // 000000009CC8: BF8CC07F
	v_max3_f32 v48, v64, v65, v48                              // 000000009CCC: D1D30030 04C28340
	v_max3_f32 v48, v66, v67, v48                              // 000000009CD4: D1D30030 04C28742
	v_max3_f32 v48, v68, v69, v48                              // 000000009CDC: D1D30030 04C28B44
	v_max3_f32 v48, v70, v71, v48                              // 000000009CE4: D1D30030 04C28F46
	v_max3_f32 v48, v72, v73, v48                              // 000000009CEC: D1D30030 04C29348
	v_max3_f32 v48, v74, v75, v48                              // 000000009CF4: D1D30030 04C2974A
	v_max3_f32 v48, v76, v77, v48                              // 000000009CFC: D1D30030 04C29B4C
	v_max3_f32 v48, v78, v79, v48                              // 000000009D04: D1D30030 04C29F4E
	v_mov_b32_e32 v64, 0xff800000                              // 000000009D0C: 7E8002FF FF800000
	v_cmp_eq_u32_e64 s[40:41], v64, v12                        // 000000009D14: D0CA0028 00021940
	s_nop 1                                                    // 000000009D1C: BF800001
	v_max_f32_e32 v15, v48, v12                                // 000000009D20: 161E1930
	v_mul_f32_e32 v53, s64, v15                                // 000000009D24: 0A6A1E40
	v_fma_f32 v128, v128, s64, -v53                            // 000000009D28: D1CB0080 84D48180
	v_fma_f32 v129, v129, s64, -v53                            // 000000009D30: D1CB0081 84D48181
	v_fma_f32 v130, v130, s64, -v53                            // 000000009D38: D1CB0082 84D48182
	v_fma_f32 v131, v131, s64, -v53                            // 000000009D40: D1CB0083 84D48183
	v_fma_f32 v132, v132, s64, -v53                            // 000000009D48: D1CB0084 84D48184
	v_fma_f32 v133, v133, s64, -v53                            // 000000009D50: D1CB0085 84D48185
	v_fma_f32 v134, v134, s64, -v53                            // 000000009D58: D1CB0086 84D48186
	v_fma_f32 v135, v135, s64, -v53                            // 000000009D60: D1CB0087 84D48187
	v_fma_f32 v136, v136, s64, -v53                            // 000000009D68: D1CB0088 84D48188
	v_fma_f32 v137, v137, s64, -v53                            // 000000009D70: D1CB0089 84D48189
	v_fma_f32 v138, v138, s64, -v53                            // 000000009D78: D1CB008A 84D4818A
	v_fma_f32 v139, v139, s64, -v53                            // 000000009D80: D1CB008B 84D4818B
	v_fma_f32 v140, v140, s64, -v53                            // 000000009D88: D1CB008C 84D4818C
	v_fma_f32 v141, v141, s64, -v53                            // 000000009D90: D1CB008D 84D4818D
	v_fma_f32 v142, v142, s64, -v53                            // 000000009D98: D1CB008E 84D4818E
	v_fma_f32 v143, v143, s64, -v53                            // 000000009DA0: D1CB008F 84D4818F
	v_exp_f32_e32 v128, v128                                   // 000000009DA8: 7F004180
	v_exp_f32_e32 v129, v129                                   // 000000009DAC: 7F024181
	v_exp_f32_e32 v130, v130                                   // 000000009DB0: 7F044182
	v_exp_f32_e32 v131, v131                                   // 000000009DB4: 7F064183
	v_exp_f32_e32 v132, v132                                   // 000000009DB8: 7F084184
	v_exp_f32_e32 v133, v133                                   // 000000009DBC: 7F0A4185
	v_exp_f32_e32 v134, v134                                   // 000000009DC0: 7F0C4186
	v_exp_f32_e32 v135, v135                                   // 000000009DC4: 7F0E4187
	v_exp_f32_e32 v136, v136                                   // 000000009DC8: 7F104188
	v_exp_f32_e32 v137, v137                                   // 000000009DCC: 7F124189
	v_exp_f32_e32 v138, v138                                   // 000000009DD0: 7F14418A
	v_exp_f32_e32 v139, v139                                   // 000000009DD4: 7F16418B
	v_exp_f32_e32 v140, v140                                   // 000000009DD8: 7F18418C
	v_exp_f32_e32 v141, v141                                   // 000000009DDC: 7F1A418D
	v_exp_f32_e32 v142, v142                                   // 000000009DE0: 7F1C418E
	v_exp_f32_e32 v143, v143                                   // 000000009DE4: 7F1E418F
	v_mul_f32_dpp v240, v252, v128 quad_perm:[0,0,0,0] row_mask:0xf bank_mask:0xf// 000000009DE8: 0BE100FA FF0000FC
	v_mul_f32_dpp v241, v252, v129 quad_perm:[1,1,1,1] row_mask:0xf bank_mask:0xf// 000000009DF0: 0BE302FA FF0055FC
	v_mul_f32_dpp v242, v252, v130 quad_perm:[2,2,2,2] row_mask:0xf bank_mask:0xf// 000000009DF8: 0BE504FA FF00AAFC
	v_mul_f32_dpp v243, v252, v131 quad_perm:[3,3,3,3] row_mask:0xf bank_mask:0xf// 000000009E00: 0BE706FA FF00FFFC
	v_mul_f32_dpp v244, v253, v132 quad_perm:[0,0,0,0] row_mask:0xf bank_mask:0xf// 000000009E08: 0BE908FA FF0000FD
	v_mul_f32_dpp v245, v253, v133 quad_perm:[1,1,1,1] row_mask:0xf bank_mask:0xf// 000000009E10: 0BEB0AFA FF0055FD
	v_mul_f32_dpp v246, v253, v134 quad_perm:[2,2,2,2] row_mask:0xf bank_mask:0xf// 000000009E18: 0BED0CFA FF00AAFD
	v_mul_f32_dpp v247, v253, v135 quad_perm:[3,3,3,3] row_mask:0xf bank_mask:0xf// 000000009E20: 0BEF0EFA FF00FFFD
	v_mul_f32_dpp v248, v254, v136 quad_perm:[0,0,0,0] row_mask:0xf bank_mask:0xf// 000000009E28: 0BF110FA FF0000FE
	v_mul_f32_dpp v249, v254, v137 quad_perm:[1,1,1,1] row_mask:0xf bank_mask:0xf// 000000009E30: 0BF312FA FF0055FE
	v_mul_f32_dpp v250, v254, v138 quad_perm:[2,2,2,2] row_mask:0xf bank_mask:0xf// 000000009E38: 0BF514FA FF00AAFE
	v_mul_f32_dpp v251, v254, v139 quad_perm:[3,3,3,3] row_mask:0xf bank_mask:0xf// 000000009E40: 0BF716FA FF00FFFE
	v_mul_f32_dpp v252, v255, v140 quad_perm:[0,0,0,0] row_mask:0xf bank_mask:0xf// 000000009E48: 0BF918FA FF0000FF
	v_mul_f32_dpp v253, v255, v141 quad_perm:[1,1,1,1] row_mask:0xf bank_mask:0xf// 000000009E50: 0BFB1AFA FF0055FF
	v_mul_f32_dpp v254, v255, v142 quad_perm:[2,2,2,2] row_mask:0xf bank_mask:0xf// 000000009E58: 0BFD1CFA FF00AAFF
	v_mul_f32_dpp v255, v255, v143 quad_perm:[3,3,3,3] row_mask:0xf bank_mask:0xf// 000000009E60: 0BFF1EFA FF00FFFF
	v_mov_b32_e32 v48, 0x358637bd                              // 000000009E68: 7E6002FF 358637BD
	v_max3_f32 v48, |v240|, |v241|, v48                        // 000000009E70: D1D30330 04C3E3F0
	v_max3_f32 v48, |v242|, |v243|, v48                        // 000000009E78: D1D30330 04C3E7F2
	v_max3_f32 v48, |v244|, |v245|, v48                        // 000000009E80: D1D30330 04C3EBF4
	v_max3_f32 v48, |v246|, |v247|, v48                        // 000000009E88: D1D30330 04C3EFF6
	v_max3_f32 v48, |v248|, |v249|, v48                        // 000000009E90: D1D30330 04C3F3F8
	v_max3_f32 v48, |v250|, |v251|, v48                        // 000000009E98: D1D30330 04C3F7FA
	v_max3_f32 v48, |v252|, |v253|, v48                        // 000000009EA0: D1D30330 04C3FBFC
	v_max3_f32 v48, |v254|, |v255|, v48                        // 000000009EA8: D1D30330 04C3FFFE
	ds_write_b32 v8, v48 offset:20992                          // 000000009EB0: D81A5200 00003008
	v_sub_f32_e32 v50, v12, v15                                // 000000009EB8: 04641F0C
	v_cndmask_b32_e64 v50, v50, 0, s[40:41]                    // 000000009EBC: D1000032 00A10132
	v_mov_b32_e32 v12, v15                                     // 000000009EC4: 7E18030F
	v_mul_f32_e32 v50, s64, v50                                // 000000009EC8: 0A646440
	v_exp_f32_e32 v50, v50                                     // 000000009ECC: 7E644132
	s_waitcnt lgkmcnt(0)                                       // 000000009ED0: BF8CC07F
	s_barrier                                                  // 000000009ED4: BF8A0000
	ds_read_b32 v64, v7 offset:20992                           // 000000009ED8: D86C5200 40000007
	ds_read_b32 v65, v7 offset:21056                           // 000000009EE0: D86C5240 41000007
	ds_read_b32 v66, v7 offset:21120                           // 000000009EE8: D86C5280 42000007
	ds_read_b32 v67, v7 offset:21184                           // 000000009EF0: D86C52C0 43000007
	ds_read_b32 v68, v7 offset:21248                           // 000000009EF8: D86C5300 44000007
	ds_read_b32 v69, v7 offset:21312                           // 000000009F00: D86C5340 45000007
	ds_read_b32 v70, v7 offset:21376                           // 000000009F08: D86C5380 46000007
	ds_read_b32 v71, v7 offset:21440                           // 000000009F10: D86C53C0 47000007
	ds_read_b32 v72, v7 offset:21504                           // 000000009F18: D86C5400 48000007
	ds_read_b32 v73, v7 offset:21568                           // 000000009F20: D86C5440 49000007
	ds_read_b32 v74, v7 offset:21632                           // 000000009F28: D86C5480 4A000007
	ds_read_b32 v75, v7 offset:21696                           // 000000009F30: D86C54C0 4B000007
	ds_read_b32 v76, v7 offset:21760                           // 000000009F38: D86C5500 4C000007
	ds_read_b32 v77, v7 offset:21824                           // 000000009F40: D86C5540 4D000007
	ds_read_b32 v78, v7 offset:21888                           // 000000009F48: D86C5580 4E000007
	ds_read_b32 v79, v7 offset:21952                           // 000000009F50: D86C55C0 4F000007
	v_mul_f32_e32 v39, v50, v39                                // 000000009F58: 0A4E4F32
	v_mov_b32_e32 v15, v128                                    // 000000009F5C: 7E1E0380
	v_add_f32_e32 v15, v129, v15                               // 000000009F60: 021E1F81
	v_add_f32_e32 v15, v130, v15                               // 000000009F64: 021E1F82
	v_add_f32_e32 v15, v131, v15                               // 000000009F68: 021E1F83
	v_add_f32_e32 v15, v132, v15                               // 000000009F6C: 021E1F84
	v_add_f32_e32 v15, v133, v15                               // 000000009F70: 021E1F85
	v_add_f32_e32 v15, v134, v15                               // 000000009F74: 021E1F86
	v_add_f32_e32 v15, v135, v15                               // 000000009F78: 021E1F87
	v_add_f32_e32 v15, v136, v15                               // 000000009F7C: 021E1F88
	v_add_f32_e32 v15, v137, v15                               // 000000009F80: 021E1F89
	v_add_f32_e32 v15, v138, v15                               // 000000009F84: 021E1F8A
	v_add_f32_e32 v15, v139, v15                               // 000000009F88: 021E1F8B
	v_add_f32_e32 v15, v140, v15                               // 000000009F8C: 021E1F8C
	v_add_f32_e32 v15, v141, v15                               // 000000009F90: 021E1F8D
	v_add_f32_e32 v15, v142, v15                               // 000000009F94: 021E1F8E
	v_add_f32_e32 v15, v143, v15                               // 000000009F98: 021E1F8F
	v_add_f32_e32 v39, v15, v39                                // 000000009F9C: 024E4F0F
	s_waitcnt lgkmcnt(0)                                       // 000000009FA0: BF8CC07F
	v_max3_f32 v48, |v64|, |v65|, v48                          // 000000009FA4: D1D30330 04C28340
	v_max3_f32 v48, |v66|, |v67|, v48                          // 000000009FAC: D1D30330 04C28742
	v_max3_f32 v48, |v68|, |v69|, v48                          // 000000009FB4: D1D30330 04C28B44
	v_max3_f32 v48, |v70|, |v71|, v48                          // 000000009FBC: D1D30330 04C28F46
	v_max3_f32 v48, |v72|, |v73|, v48                          // 000000009FC4: D1D30330 04C29348
	v_max3_f32 v48, |v74|, |v75|, v48                          // 000000009FCC: D1D30330 04C2974A
	v_max3_f32 v48, |v76|, |v77|, v48                          // 000000009FD4: D1D30330 04C29B4C
	v_max3_f32 v48, |v78|, |v79|, v48                          // 000000009FDC: D1D30330 04C29F4E
	s_nop 2                                                    // 000000009FE4: BF800002
	v_rcp_f32_e32 v48, v48                                     // 000000009FE8: 7E604530
	s_nop 1                                                    // 000000009FEC: BF800001
	v_mul_f32_e32 v48, 0x43700000, v48                         // 000000009FF0: 0A6060FF 43700000
	v_mul_f32_e32 v128, v48, v240                              // 000000009FF8: 0B01E130
	v_mul_f32_e32 v129, v48, v241                              // 000000009FFC: 0B03E330
	v_mul_f32_e32 v130, v48, v242                              // 00000000A000: 0B05E530
	v_mul_f32_e32 v131, v48, v243                              // 00000000A004: 0B07E730
	v_mul_f32_e32 v132, v48, v244                              // 00000000A008: 0B09E930
	v_mul_f32_e32 v133, v48, v245                              // 00000000A00C: 0B0BEB30
	v_mul_f32_e32 v134, v48, v246                              // 00000000A010: 0B0DED30
	v_mul_f32_e32 v135, v48, v247                              // 00000000A014: 0B0FEF30
	v_mul_f32_e32 v136, v48, v248                              // 00000000A018: 0B11F130
	v_mul_f32_e32 v137, v48, v249                              // 00000000A01C: 0B13F330
	v_mul_f32_e32 v138, v48, v250                              // 00000000A020: 0B15F530
	v_mul_f32_e32 v139, v48, v251                              // 00000000A024: 0B17F730
	v_mul_f32_e32 v140, v48, v252                              // 00000000A028: 0B19F930
	v_mul_f32_e32 v141, v48, v253                              // 00000000A02C: 0B1BFB30
	v_mul_f32_e32 v142, v48, v254                              // 00000000A030: 0B1DFD30
	v_mul_f32_e32 v143, v48, v255                              // 00000000A034: 0B1FFF30
	v_cvt_pk_fp8_f32 v128, v128, v129                          // 00000000A038: D2A20080 00030380
	v_cvt_pk_fp8_f32 v128, v130, v131 op_sel:[0,0,1]           // 00000000A040: D2A24080 00030782
	v_cvt_pk_fp8_f32 v129, v132, v133                          // 00000000A048: D2A20081 00030B84
	v_cvt_pk_fp8_f32 v129, v134, v135 op_sel:[0,0,1]           // 00000000A050: D2A24081 00030F86
	v_cvt_pk_fp8_f32 v130, v136, v137                          // 00000000A058: D2A20082 00031388
	v_cvt_pk_fp8_f32 v130, v138, v139 op_sel:[0,0,1]           // 00000000A060: D2A24082 0003178A
	v_cvt_pk_fp8_f32 v131, v140, v141                          // 00000000A068: D2A20083 00031B8C
	v_cvt_pk_fp8_f32 v131, v142, v143 op_sel:[0,0,1]           // 00000000A070: D2A24083 00031F8E
	ds_write_b32 v10, v128 offset:29184                        // 00000000A078: D81A7200 0000800A
	ds_write_b32 v10, v129 offset:30208                        // 00000000A080: D81A7600 0000810A
	ds_write_b32 v10, v130 offset:31232                        // 00000000A088: D81A7A00 0000820A
	ds_write_b32 v10, v131 offset:32256                        // 00000000A090: D81A7E00 0000830A
	v_add_f32_e32 v216, v216, v184                             // 00000000A098: 03B171D8
	v_add_f32_e32 v217, v217, v185                             // 00000000A09C: 03B373D9
	v_add_f32_e32 v218, v218, v186                             // 00000000A0A0: 03B575DA
	v_add_f32_e32 v219, v219, v187                             // 00000000A0A4: 03B777DB
	v_add_f32_e32 v220, v220, v188                             // 00000000A0A8: 03B979DC
	v_add_f32_e32 v221, v221, v189                             // 00000000A0AC: 03BB7BDD
	v_add_f32_e32 v222, v222, v190                             // 00000000A0B0: 03BD7DDE
	v_add_f32_e32 v223, v223, v191                             // 00000000A0B4: 03BF7FDF
	v_rcp_f32_e32 v45, v48                                     // 00000000A0B8: 7E5A4530
	s_waitcnt lgkmcnt(0)                                       // 00000000A0BC: BF8CC07F
	s_barrier                                                  // 00000000A0C0: BF8A0000
	ds_read_b64 v[128:129], v9 offset:29184                    // 00000000A0C4: D8EC7200 80000009
	ds_read_b64 v[130:131], v9 offset:29312                    // 00000000A0CC: D8EC7280 82000009
	ds_read_b64 v[132:133], v9 offset:30208                    // 00000000A0D4: D8EC7600 84000009
	ds_read_b64 v[134:135], v9 offset:30336                    // 00000000A0DC: D8EC7680 86000009
	ds_read_b64 v[136:137], v9 offset:31232                    // 00000000A0E4: D8EC7A00 88000009
	ds_read_b64 v[138:139], v9 offset:31360                    // 00000000A0EC: D8EC7A80 8A000009
	ds_read_b64 v[140:141], v9 offset:32256                    // 00000000A0F4: D8EC7E00 8C000009
	ds_read_b64 v[142:143], v9 offset:32384                    // 00000000A0FC: D8EC7E80 8E000009
	s_waitcnt vmcnt(15)                                        // 00000000A104: BF8C0F7F
	v_mfma_f32_16x16x32_fp8_fp8 v[176:179], a[96:97], v[112:113], 0// 00000000A108: D3F300B0 0A02E160
	v_mfma_f32_16x16x32_fp8_fp8 v[176:179], a[98:99], v[114:115], v[176:179]// 00000000A110: D3F300B0 0EC2E562
	buffer_load_dwordx4 a[80:83], v30, s[20:23], 0 offen offset:1024// 00000000A118: E05C1400 8085501E
	v_mfma_f32_16x16x32_fp8_fp8 v[176:179], a[100:101], v[116:117], v[176:179]// 00000000A120: D3F300B0 0EC2E964
	v_mfma_f32_16x16x32_fp8_fp8 v[176:179], a[102:103], v[118:119], v[176:179]// 00000000A128: D3F300B0 0EC2ED66
	v_mfma_f32_16x16x32_fp8_fp8 v[176:179], a[104:105], v[120:121], v[176:179]// 00000000A130: D3F300B0 0EC2F168
	v_mfma_f32_16x16x32_fp8_fp8 v[176:179], a[106:107], v[122:123], v[176:179]// 00000000A138: D3F300B0 0EC2F56A
	buffer_load_dwordx4 a[84:87], v31, s[20:23], 0 offen offset:1024// 00000000A140: E05C1400 8085541F
	v_mfma_f32_16x16x32_fp8_fp8 v[176:179], a[108:109], v[124:125], v[176:179]// 00000000A148: D3F300B0 0EC2F96C
	v_mfma_f32_16x16x32_fp8_fp8 v[176:179], a[110:111], v[126:127], v[176:179]// 00000000A150: D3F300B0 0EC2FD6E
	v_mfma_f32_16x16x32_fp8_fp8 v[180:183], a[112:113], v[112:113], 0// 00000000A158: D3F300B4 0A02E170
	v_mfma_f32_16x16x32_fp8_fp8 v[180:183], a[114:115], v[114:115], v[180:183]// 00000000A160: D3F300B4 0ED2E572
	buffer_load_dwordx4 a[88:91], v32, s[20:23], 0 offen offset:1024// 00000000A168: E05C1400 80855820
	v_mfma_f32_16x16x32_fp8_fp8 v[180:183], a[116:117], v[116:117], v[180:183]// 00000000A170: D3F300B4 0ED2E974
	v_mfma_f32_16x16x32_fp8_fp8 v[180:183], a[118:119], v[118:119], v[180:183]// 00000000A178: D3F300B4 0ED2ED76
	v_mfma_f32_16x16x32_fp8_fp8 v[180:183], a[120:121], v[120:121], v[180:183]// 00000000A180: D3F300B4 0ED2F178
	v_mfma_f32_16x16x32_fp8_fp8 v[180:183], a[122:123], v[122:123], v[180:183]// 00000000A188: D3F300B4 0ED2F57A
	buffer_load_dwordx4 a[92:95], v33, s[20:23], 0 offen offset:1024// 00000000A190: E05C1400 80855C21
	v_mfma_f32_16x16x32_fp8_fp8 v[180:183], a[124:125], v[124:125], v[180:183]// 00000000A198: D3F300B4 0ED2F97C
	s_lshr_b32 s57, s70, 4                                     // 00000000A1A0: 8F398446
	s_add_u32 s57, 48, s57                                     // 00000000A1A4: 803939B0
	v_mfma_f32_16x16x32_fp8_fp8 v[180:183], a[126:127], v[126:127], v[180:183]// 00000000A1A8: D3F300B4 0ED2FD7E
	s_cmp_ge_u32 s57, s73                                      // 00000000A1B0: BF094939
	s_cselect_b32 s56, 0, s56                                  // 00000000A1B4: 85383880
	v_mfma_f32_16x16x32_fp8_fp8 v[184:187], a[96:97], v[128:129], 0// 00000000A1B8: D3F300B8 0A030160
	v_mfma_f32_16x16x32_fp8_fp8 v[184:187], a[98:99], v[130:131], v[184:187]// 00000000A1C0: D3F300B8 0EE30562
	v_mfma_f32_16x16x32_fp8_fp8 v[184:187], a[100:101], v[132:133], v[184:187]// 00000000A1C8: D3F300B8 0EE30964
	v_mfma_f32_16x16x32_fp8_fp8 v[184:187], a[102:103], v[134:135], v[184:187]// 00000000A1D0: D3F300B8 0EE30D66
	v_mfma_f32_16x16x32_fp8_fp8 v[184:187], a[104:105], v[136:137], v[184:187]// 00000000A1D8: D3F300B8 0EE31168
	v_mfma_f32_16x16x32_fp8_fp8 v[184:187], a[106:107], v[138:139], v[184:187]// 00000000A1E0: D3F300B8 0EE3156A
	v_mfma_f32_16x16x32_fp8_fp8 v[184:187], a[108:109], v[140:141], v[184:187]// 00000000A1E8: D3F300B8 0EE3196C
	v_mfma_f32_16x16x32_fp8_fp8 v[184:187], a[110:111], v[142:143], v[184:187]// 00000000A1F0: D3F300B8 0EE31D6E
	v_mfma_f32_16x16x32_fp8_fp8 v[188:191], a[112:113], v[128:129], 0// 00000000A1F8: D3F300BC 0A030170
	v_mfma_f32_16x16x32_fp8_fp8 v[188:191], a[114:115], v[130:131], v[188:191]// 00000000A200: D3F300BC 0EF30572
	v_mfma_f32_16x16x32_fp8_fp8 v[188:191], a[116:117], v[132:133], v[188:191]// 00000000A208: D3F300BC 0EF30974
	v_mfma_f32_16x16x32_fp8_fp8 v[188:191], a[118:119], v[134:135], v[188:191]// 00000000A210: D3F300BC 0EF30D76
	v_mfma_f32_16x16x32_fp8_fp8 v[188:191], a[120:121], v[136:137], v[188:191]// 00000000A218: D3F300BC 0EF31178
	v_mfma_f32_16x16x32_fp8_fp8 v[188:191], a[122:123], v[138:139], v[188:191]// 00000000A220: D3F300BC 0EF3157A
	v_mfma_f32_16x16x32_fp8_fp8 v[188:191], a[124:125], v[140:141], v[188:191]// 00000000A228: D3F300BC 0EF3197C
	v_mfma_f32_16x16x32_fp8_fp8 v[188:191], a[126:127], v[142:143], v[188:191]// 00000000A230: D3F300BC 0EF31D7E
	v_add_u32_e32 v1, s56, v1                                  // 00000000A238: 68020238
	s_addk_i32 s70, 0x100                                      // 00000000A23C: B7460100
	s_cmp_lt_i32 s70, s71                                      // 00000000A240: BF044746
	s_cbranch_scc0 label_2013                                  // 00000000A244: BF840001
	s_branch label_15C8                                        // 00000000A248: BF82F5B5

000000000000a24c <label_2013>:
	s_nop 0                                                    // 00000000A24C: BF800000
	s_nop 0                                                    // 00000000A250: BF800000
	s_branch label_2A61                                        // 00000000A254: BF820A4B

000000000000a258 <label_2016>:
	s_waitcnt vmcnt(8) lgkmcnt(0)                              // 00000000A258: BF8C0078
	v_mul_u32_u24_dpp v64, v17, v54 row_newbcast:0 row_mask:0xf bank_mask:0xf// 00000000A25C: 10806CFA FF015011
	v_mul_u32_u24_dpp v65, v17, v54 row_newbcast:4 row_mask:0xf bank_mask:0xf// 00000000A264: 10826CFA FF015411
	v_mul_u32_u24_dpp v66, v17, v54 row_newbcast:8 row_mask:0xf bank_mask:0xf// 00000000A26C: 10846CFA FF015811
	v_mul_u32_u24_dpp v67, v17, v54 row_newbcast:12 row_mask:0xf bank_mask:0xf// 00000000A274: 10866CFA FF015C11
	v_add_u32_e32 v26, v64, v5                                 // 00000000A27C: 68340B40
	v_add_u32_e32 v27, v65, v5                                 // 00000000A280: 68360B41
	v_add_u32_e32 v28, v66, v5                                 // 00000000A284: 68380B42
	v_add_u32_e32 v29, v67, v5                                 // 00000000A288: 683A0B43
	v_mul_u32_u24_dpp v64, v17, v63 quad_perm:[0,0,0,0] row_mask:0xf bank_mask:0xf// 00000000A28C: 10807EFA FF000011
	v_add_u32_e32 v3, v64, v59                                 // 00000000A294: 68067740
	v_mul_u32_u24_dpp v64, v17, v63 quad_perm:[0,0,0,0] row_mask:0xf bank_mask:0xf// 00000000A298: 10807EFA FF000011
	v_add_u32_e32 v56, v64, v60                                // 00000000A2A0: 68707940
	v_mfma_f32_16x16x32_fp8_fp8 v[112:115], a[0:1], v[80:81], 0// 00000000A2A4: D3F30070 0A02A100
	buffer_load_dwordx4 a[32:35], v26, s[16:19], 0 offen       // 00000000A2AC: E05C1000 8084201A
	v_mfma_f32_16x16x32_fp8_fp8 v[112:115], a[2:3], v[82:83], v[112:115]// 00000000A2B4: D3F30070 0DC2A502
	v_mfma_f32_16x16x32_fp8_fp8 v[112:115], a[4:5], v[84:85], v[112:115]// 00000000A2BC: D3F30070 0DC2A904
	buffer_load_dword v16, v1, s[24:27], 0 offen               // 00000000A2C4: E0501000 80061001
	v_mfma_f32_16x16x32_fp8_fp8 v[112:115], a[6:7], v[86:87], v[112:115]// 00000000A2CC: D3F30070 0DC2AD06
	v_mfma_f32_16x16x32_fp8_fp8 v[116:119], a[8:9], v[80:81], 0// 00000000A2D4: D3F30074 0A02A108
	buffer_load_dwordx4 a[36:39], v26, s[16:19], 0 offen offset:1024// 00000000A2DC: E05C1400 8084241A
	v_mfma_f32_16x16x32_fp8_fp8 v[116:119], a[10:11], v[82:83], v[116:119]// 00000000A2E4: D3F30074 0DD2A50A
	v_mfma_f32_16x16x32_fp8_fp8 v[116:119], a[12:13], v[84:85], v[116:119]// 00000000A2EC: D3F30074 0DD2A90C
	v_mfma_f32_16x16x32_fp8_fp8 v[116:119], a[14:15], v[86:87], v[116:119]// 00000000A2F4: D3F30074 0DD2AD0E
	v_mfma_f32_16x16x32_fp8_fp8 v[120:123], a[16:17], v[80:81], 0// 00000000A2FC: D3F30078 0A02A110
	buffer_load_dwordx4 a[40:43], v27, s[16:19], 0 offen       // 00000000A304: E05C1000 8084281B
	v_mfma_f32_16x16x32_fp8_fp8 v[120:123], a[18:19], v[82:83], v[120:123]// 00000000A30C: D3F30078 0DE2A512
	v_mfma_f32_16x16x32_fp8_fp8 v[120:123], a[20:21], v[84:85], v[120:123]// 00000000A314: D3F30078 0DE2A914
	v_mfma_f32_16x16x32_fp8_fp8 v[120:123], a[22:23], v[86:87], v[120:123]// 00000000A31C: D3F30078 0DE2AD16
	v_mfma_f32_16x16x32_fp8_fp8 v[124:127], a[24:25], v[80:81], 0// 00000000A324: D3F3007C 0A02A118
	buffer_load_dwordx4 a[44:47], v27, s[16:19], 0 offen offset:1024// 00000000A32C: E05C1400 80842C1B
	v_mfma_f32_16x16x32_fp8_fp8 v[124:127], a[26:27], v[82:83], v[124:127]// 00000000A334: D3F3007C 0DF2A51A
	v_mfma_f32_16x16x32_fp8_fp8 v[124:127], a[28:29], v[84:85], v[124:127]// 00000000A33C: D3F3007C 0DF2A91C
	v_mfma_f32_16x16x32_fp8_fp8 v[124:127], a[30:31], v[86:87], v[124:127]// 00000000A344: D3F3007C 0DF2AD1E
	v_mfma_f32_16x16x32_fp8_fp8 v[128:131], a[0:1], v[88:89], 0// 00000000A34C: D3F30080 0A02B100
	v_mfma_f32_16x16x32_fp8_fp8 v[128:131], a[2:3], v[90:91], v[128:131]// 00000000A354: D3F30080 0E02B502
	v_mfma_f32_16x16x32_fp8_fp8 v[128:131], a[4:5], v[92:93], v[128:131]// 00000000A35C: D3F30080 0E02B904
	v_mfma_f32_16x16x32_fp8_fp8 v[128:131], a[6:7], v[94:95], v[128:131]// 00000000A364: D3F30080 0E02BD06
	v_mfma_f32_16x16x32_fp8_fp8 v[132:135], a[8:9], v[88:89], 0// 00000000A36C: D3F30084 0A02B108
	v_mfma_f32_16x16x32_fp8_fp8 v[132:135], a[10:11], v[90:91], v[132:135]// 00000000A374: D3F30084 0E12B50A
	v_mfma_f32_16x16x32_fp8_fp8 v[132:135], a[12:13], v[92:93], v[132:135]// 00000000A37C: D3F30084 0E12B90C
	v_mfma_f32_16x16x32_fp8_fp8 v[132:135], a[14:15], v[94:95], v[132:135]// 00000000A384: D3F30084 0E12BD0E
	v_mfma_f32_16x16x32_fp8_fp8 v[136:139], a[16:17], v[88:89], 0// 00000000A38C: D3F30088 0A02B110
	v_mfma_f32_16x16x32_fp8_fp8 v[136:139], a[18:19], v[90:91], v[136:139]// 00000000A394: D3F30088 0E22B512
	v_mfma_f32_16x16x32_fp8_fp8 v[136:139], a[20:21], v[92:93], v[136:139]// 00000000A39C: D3F30088 0E22B914
	v_mfma_f32_16x16x32_fp8_fp8 v[136:139], a[22:23], v[94:95], v[136:139]// 00000000A3A4: D3F30088 0E22BD16
	v_mfma_f32_16x16x32_fp8_fp8 v[140:143], a[24:25], v[88:89], 0// 00000000A3AC: D3F3008C 0A02B118
	v_mfma_f32_16x16x32_fp8_fp8 v[140:143], a[26:27], v[90:91], v[140:143]// 00000000A3B4: D3F3008C 0E32B51A
	v_mfma_f32_16x16x32_fp8_fp8 v[140:143], a[28:29], v[92:93], v[140:143]// 00000000A3BC: D3F3008C 0E32B91C
	v_mfma_f32_16x16x32_fp8_fp8 v[140:143], a[30:31], v[94:95], v[140:143]// 00000000A3C4: D3F3008C 0E32BD1E
	buffer_load_dword v43, v3, s[32:35], 0 offen               // 00000000A3CC: E0501000 80082B03
	v_mov_b32_dpp v64, v42 row_shr:4 row_mask:0xf bank_mask:0xf// 00000000A3D4: 7E8002FA FF01142A
	v_mov_b32_dpp v65, v42 row_shl:4 row_mask:0xf bank_mask:0xf// 00000000A3DC: 7E8202FA FF01042A
	v_cndmask_b32_e64 v248, v42, v64, s[44:45]                 // 00000000A3E4: D10000F8 00B2812A
	v_cndmask_b32_e64 v249, v65, v42, s[44:45]                 // 00000000A3EC: D10000F9 00B25541
	v_mov_b32_dpp v64, v248 row_shr:8 row_mask:0xf bank_mask:0xf// 00000000A3F4: 7E8002FA FF0118F8
	v_mov_b32_dpp v65, v248 row_shl:8 row_mask:0xf bank_mask:0xf// 00000000A3FC: 7E8202FA FF0108F8
	v_mov_b32_dpp v66, v249 row_shr:8 row_mask:0xf bank_mask:0xf// 00000000A404: 7E8402FA FF0118F9
	v_mov_b32_dpp v67, v249 row_shl:8 row_mask:0xf bank_mask:0xf// 00000000A40C: 7E8602FA FF0108F9
	v_mov_b32_e32 v68, v248                                    // 00000000A414: 7E8803F8
	v_mov_b32_e32 v69, v249                                    // 00000000A418: 7E8A03F9
	v_cndmask_b32_e64 v248, v68, v64, s[42:43]                 // 00000000A41C: D10000F8 00AA8144
	v_cndmask_b32_e64 v250, v68, v65, s[78:79]                 // 00000000A424: D10000FA 013A8344
	v_cndmask_b32_e64 v249, v69, v66, s[42:43]                 // 00000000A42C: D10000F9 00AA8545
	v_cndmask_b32_e64 v251, v69, v67, s[78:79]                 // 00000000A434: D10000FB 013A8745
	v_mov_b32_dpp v64, v57 row_shr:4 row_mask:0xf bank_mask:0xf// 00000000A43C: 7E8002FA FF011439
	v_mov_b32_dpp v65, v57 row_shl:4 row_mask:0xf bank_mask:0xf// 00000000A444: 7E8202FA FF010439
	v_cndmask_b32_e64 v252, v57, v64, s[44:45]                 // 00000000A44C: D10000FC 00B28139
	v_cndmask_b32_e64 v253, v65, v57, s[44:45]                 // 00000000A454: D10000FD 00B27341
	v_mov_b32_dpp v64, v252 row_shr:8 row_mask:0xf bank_mask:0xf// 00000000A45C: 7E8002FA FF0118FC
	v_mov_b32_dpp v65, v252 row_shl:8 row_mask:0xf bank_mask:0xf// 00000000A464: 7E8202FA FF0108FC
	v_mov_b32_dpp v66, v253 row_shr:8 row_mask:0xf bank_mask:0xf// 00000000A46C: 7E8402FA FF0118FD
	v_mov_b32_dpp v67, v253 row_shl:8 row_mask:0xf bank_mask:0xf// 00000000A474: 7E8602FA FF0108FD
	v_mov_b32_e32 v68, v252                                    // 00000000A47C: 7E8803FC
	v_mov_b32_e32 v69, v253                                    // 00000000A480: 7E8A03FD
	v_cndmask_b32_e64 v252, v68, v64, s[42:43]                 // 00000000A484: D10000FC 00AA8144
	v_cndmask_b32_e64 v254, v68, v65, s[78:79]                 // 00000000A48C: D10000FE 013A8344
	v_cndmask_b32_e64 v253, v69, v66, s[42:43]                 // 00000000A494: D10000FD 00AA8545
	v_cndmask_b32_e64 v255, v69, v67, s[78:79]                 // 00000000A49C: D10000FF 013A8745
	buffer_load_dword v58, v56, s[36:39], 0 offen              // 00000000A4A4: E0501000 80093A38
	v_mul_f32_e32 v112, v18, v112                              // 00000000A4AC: 0AE0E112
	v_mul_f32_e32 v113, v18, v113                              // 00000000A4B0: 0AE2E312
	v_mul_f32_e32 v114, v18, v114                              // 00000000A4B4: 0AE4E512
	v_mul_f32_e32 v115, v18, v115                              // 00000000A4B8: 0AE6E712
	v_mul_f32_e32 v116, v18, v116                              // 00000000A4BC: 0AE8E912
	v_mul_f32_e32 v117, v18, v117                              // 00000000A4C0: 0AEAEB12
	v_mul_f32_e32 v118, v18, v118                              // 00000000A4C4: 0AECED12
	v_mul_f32_e32 v119, v18, v119                              // 00000000A4C8: 0AEEEF12
	v_mul_f32_e32 v120, v18, v120                              // 00000000A4CC: 0AF0F112
	v_mul_f32_e32 v121, v18, v121                              // 00000000A4D0: 0AF2F312
	v_mul_f32_e32 v122, v18, v122                              // 00000000A4D4: 0AF4F512
	v_mul_f32_e32 v123, v18, v123                              // 00000000A4D8: 0AF6F712
	v_mul_f32_e32 v124, v18, v124                              // 00000000A4DC: 0AF8F912
	v_mul_f32_e32 v125, v18, v125                              // 00000000A4E0: 0AFAFB12
	v_mul_f32_e32 v126, v18, v126                              // 00000000A4E4: 0AFCFD12
	v_mul_f32_e32 v127, v18, v127                              // 00000000A4E8: 0AFEFF12
	buffer_load_dwordx4 a[48:51], v28, s[16:19], 0 offen       // 00000000A4EC: E05C1000 8084301C
	v_mul_f32_dpp v112, v248, v112 quad_perm:[0,0,0,0] row_mask:0xf bank_mask:0xf// 00000000A4F4: 0AE0E0FA FF0000F8
	v_mul_f32_dpp v113, v248, v113 quad_perm:[1,1,1,1] row_mask:0xf bank_mask:0xf// 00000000A4FC: 0AE2E2FA FF0055F8
	v_mul_f32_dpp v114, v248, v114 quad_perm:[2,2,2,2] row_mask:0xf bank_mask:0xf// 00000000A504: 0AE4E4FA FF00AAF8
	v_mul_f32_dpp v115, v248, v115 quad_perm:[3,3,3,3] row_mask:0xf bank_mask:0xf// 00000000A50C: 0AE6E6FA FF00FFF8
	v_mul_f32_dpp v116, v249, v116 quad_perm:[0,0,0,0] row_mask:0xf bank_mask:0xf// 00000000A514: 0AE8E8FA FF0000F9
	v_mul_f32_dpp v117, v249, v117 quad_perm:[1,1,1,1] row_mask:0xf bank_mask:0xf// 00000000A51C: 0AEAEAFA FF0055F9
	v_mul_f32_dpp v118, v249, v118 quad_perm:[2,2,2,2] row_mask:0xf bank_mask:0xf// 00000000A524: 0AECECFA FF00AAF9
	v_mul_f32_dpp v119, v249, v119 quad_perm:[3,3,3,3] row_mask:0xf bank_mask:0xf// 00000000A52C: 0AEEEEFA FF00FFF9
	v_mul_f32_dpp v120, v250, v120 quad_perm:[0,0,0,0] row_mask:0xf bank_mask:0xf// 00000000A534: 0AF0F0FA FF0000FA
	v_mul_f32_dpp v121, v250, v121 quad_perm:[1,1,1,1] row_mask:0xf bank_mask:0xf// 00000000A53C: 0AF2F2FA FF0055FA
	v_mul_f32_dpp v122, v250, v122 quad_perm:[2,2,2,2] row_mask:0xf bank_mask:0xf// 00000000A544: 0AF4F4FA FF00AAFA
	v_mul_f32_dpp v123, v250, v123 quad_perm:[3,3,3,3] row_mask:0xf bank_mask:0xf// 00000000A54C: 0AF6F6FA FF00FFFA
	v_mul_f32_dpp v124, v251, v124 quad_perm:[0,0,0,0] row_mask:0xf bank_mask:0xf// 00000000A554: 0AF8F8FA FF0000FB
	v_mul_f32_dpp v125, v251, v125 quad_perm:[1,1,1,1] row_mask:0xf bank_mask:0xf// 00000000A55C: 0AFAFAFA FF0055FB
	v_mul_f32_dpp v126, v251, v126 quad_perm:[2,2,2,2] row_mask:0xf bank_mask:0xf// 00000000A564: 0AFCFCFA FF00AAFB
	v_mul_f32_dpp v127, v251, v127 quad_perm:[3,3,3,3] row_mask:0xf bank_mask:0xf// 00000000A56C: 0AFEFEFA FF00FFFB
	buffer_load_dwordx4 a[52:55], v28, s[16:19], 0 offen offset:1024// 00000000A574: E05C1400 8084341C
	s_cmp_le_i32 s90, s89                                      // 00000000A57C: BF05595A
	s_cbranch_scc1 label_2152                                  // 00000000A580: BF850071
	v_mov_b32_e32 v66, 0xff800000                              // 00000000A584: 7E8402FF FF800000
	s_mov_b32 s60, s90                                         // 00000000A58C: BEBC005A
	s_add_u32 s61, s89, 0xff                                   // 00000000A590: 803DFF59 000000FF
	v_mov_b32_e32 v64, s61                                     // 00000000A598: 7E80023D
	v_lshrrev_b32_e32 v240, 4, v0                              // 00000000A59C: 21E00084
	v_mul_i32_i24_e32 v240, 4, v240                            // 00000000A5A0: 0DE1E084
	v_add_u32_e32 v240, s60, v240                              // 00000000A5A4: 69E1E03C
	s_mov_b32 s61, 0                                           // 00000000A5A8: BEBD0080
	s_mul_i32 s60, 16, s7                                      // 00000000A5AC: 923C0790
	v_sub_u32_e64 v240, v240, s61                              // 00000000A5B0: D13500F0 00007BF0
	v_add_u32_e32 v240, s60, v240                              // 00000000A5B8: 69E1E03C
	v_add_u32_e32 v241, 1, v240                                // 00000000A5BC: 69E3E081
	v_add_u32_e32 v242, 2, v240                                // 00000000A5C0: 69E5E082
	v_add_u32_e32 v243, 3, v240                                // 00000000A5C4: 69E7E083
	v_cmp_le_u32_e64 s[40:41], v240, v64                       // 00000000A5C8: D0CB0028 000281F0
	v_add_u32_e32 v240, 64, v240                               // 00000000A5D0: 69E1E0C0
	s_nop 0                                                    // 00000000A5D4: BF800000
	v_cndmask_b32_e64 v112, v66, v112, s[40:41]                // 00000000A5D8: D1000070 00A2E142
	v_cmp_le_u32_e64 s[40:41], v241, v64                       // 00000000A5E0: D0CB0028 000281F1
	v_add_u32_e32 v241, 64, v241                               // 00000000A5E8: 69E3E2C0
	s_nop 0                                                    // 00000000A5EC: BF800000
	v_cndmask_b32_e64 v113, v66, v113, s[40:41]                // 00000000A5F0: D1000071 00A2E342
	v_cmp_le_u32_e64 s[40:41], v242, v64                       // 00000000A5F8: D0CB0028 000281F2
	v_add_u32_e32 v242, 64, v242                               // 00000000A600: 69E5E4C0
	s_nop 0                                                    // 00000000A604: BF800000
	v_cndmask_b32_e64 v114, v66, v114, s[40:41]                // 00000000A608: D1000072 00A2E542
	v_cmp_le_u32_e64 s[40:41], v243, v64                       // 00000000A610: D0CB0028 000281F3
	v_add_u32_e32 v243, 64, v243                               // 00000000A618: 69E7E6C0
	s_nop 0                                                    // 00000000A61C: BF800000
	v_cndmask_b32_e64 v115, v66, v115, s[40:41]                // 00000000A620: D1000073 00A2E742
	v_cmp_le_u32_e64 s[40:41], v240, v64                       // 00000000A628: D0CB0028 000281F0
	v_add_u32_e32 v240, 64, v240                               // 00000000A630: 69E1E0C0
	s_nop 0                                                    // 00000000A634: BF800000
	v_cndmask_b32_e64 v116, v66, v116, s[40:41]                // 00000000A638: D1000074 00A2E942
	v_cmp_le_u32_e64 s[40:41], v241, v64                       // 00000000A640: D0CB0028 000281F1
	v_add_u32_e32 v241, 64, v241                               // 00000000A648: 69E3E2C0
	s_nop 0                                                    // 00000000A64C: BF800000
	v_cndmask_b32_e64 v117, v66, v117, s[40:41]                // 00000000A650: D1000075 00A2EB42
	v_cmp_le_u32_e64 s[40:41], v242, v64                       // 00000000A658: D0CB0028 000281F2
	v_add_u32_e32 v242, 64, v242                               // 00000000A660: 69E5E4C0
	s_nop 0                                                    // 00000000A664: BF800000
	v_cndmask_b32_e64 v118, v66, v118, s[40:41]                // 00000000A668: D1000076 00A2ED42
	v_cmp_le_u32_e64 s[40:41], v243, v64                       // 00000000A670: D0CB0028 000281F3
	v_add_u32_e32 v243, 64, v243                               // 00000000A678: 69E7E6C0
	s_nop 0                                                    // 00000000A67C: BF800000
	v_cndmask_b32_e64 v119, v66, v119, s[40:41]                // 00000000A680: D1000077 00A2EF42
	v_cmp_le_u32_e64 s[40:41], v240, v64                       // 00000000A688: D0CB0028 000281F0
	v_add_u32_e32 v240, 64, v240                               // 00000000A690: 69E1E0C0
	s_nop 0                                                    // 00000000A694: BF800000
	v_cndmask_b32_e64 v120, v66, v120, s[40:41]                // 00000000A698: D1000078 00A2F142
	v_cmp_le_u32_e64 s[40:41], v241, v64                       // 00000000A6A0: D0CB0028 000281F1
	v_add_u32_e32 v241, 64, v241                               // 00000000A6A8: 69E3E2C0
	s_nop 0                                                    // 00000000A6AC: BF800000
	v_cndmask_b32_e64 v121, v66, v121, s[40:41]                // 00000000A6B0: D1000079 00A2F342
	v_cmp_le_u32_e64 s[40:41], v242, v64                       // 00000000A6B8: D0CB0028 000281F2
	v_add_u32_e32 v242, 64, v242                               // 00000000A6C0: 69E5E4C0
	s_nop 0                                                    // 00000000A6C4: BF800000
	v_cndmask_b32_e64 v122, v66, v122, s[40:41]                // 00000000A6C8: D100007A 00A2F542
	v_cmp_le_u32_e64 s[40:41], v243, v64                       // 00000000A6D0: D0CB0028 000281F3
	v_add_u32_e32 v243, 64, v243                               // 00000000A6D8: 69E7E6C0
	s_nop 0                                                    // 00000000A6DC: BF800000
	v_cndmask_b32_e64 v123, v66, v123, s[40:41]                // 00000000A6E0: D100007B 00A2F742
	v_cmp_le_u32_e64 s[40:41], v240, v64                       // 00000000A6E8: D0CB0028 000281F0
	v_add_u32_e32 v240, 64, v240                               // 00000000A6F0: 69E1E0C0
	s_nop 0                                                    // 00000000A6F4: BF800000
	v_cndmask_b32_e64 v124, v66, v124, s[40:41]                // 00000000A6F8: D100007C 00A2F942
	v_cmp_le_u32_e64 s[40:41], v241, v64                       // 00000000A700: D0CB0028 000281F1
	v_add_u32_e32 v241, 64, v241                               // 00000000A708: 69E3E2C0
	s_nop 0                                                    // 00000000A70C: BF800000
	v_cndmask_b32_e64 v125, v66, v125, s[40:41]                // 00000000A710: D100007D 00A2FB42
	v_cmp_le_u32_e64 s[40:41], v242, v64                       // 00000000A718: D0CB0028 000281F2
	v_add_u32_e32 v242, 64, v242                               // 00000000A720: 69E5E4C0
	s_nop 0                                                    // 00000000A724: BF800000
	v_cndmask_b32_e64 v126, v66, v126, s[40:41]                // 00000000A728: D100007E 00A2FD42
	v_cmp_le_u32_e64 s[40:41], v243, v64                       // 00000000A730: D0CB0028 000281F3
	v_add_u32_e32 v243, 64, v243                               // 00000000A738: 69E7E6C0
	s_nop 0                                                    // 00000000A73C: BF800000
	v_cndmask_b32_e64 v127, v66, v127, s[40:41]                // 00000000A740: D100007F 00A2FF42

000000000000a748 <label_2152>:
	v_mov_b32_e32 v48, v112                                    // 00000000A748: 7E600370
	v_max3_f32 v48, v112, v113, v48                            // 00000000A74C: D1D30030 04C2E370
	v_max3_f32 v48, v114, v115, v48                            // 00000000A754: D1D30030 04C2E772
	v_max3_f32 v48, v116, v117, v48                            // 00000000A75C: D1D30030 04C2EB74
	v_max3_f32 v48, v118, v119, v48                            // 00000000A764: D1D30030 04C2EF76
	v_max3_f32 v48, v120, v121, v48                            // 00000000A76C: D1D30030 04C2F378
	v_max3_f32 v48, v122, v123, v48                            // 00000000A774: D1D30030 04C2F77A
	v_max3_f32 v48, v124, v125, v48                            // 00000000A77C: D1D30030 04C2FB7C
	v_max3_f32 v48, v126, v127, v48                            // 00000000A784: D1D30030 04C2FF7E
	ds_write_b32 v8, v48 offset:16896                          // 00000000A78C: D81A4200 00003008
	buffer_load_dwordx4 a[56:59], v29, s[16:19], 0 offen       // 00000000A794: E05C1000 8084381D
	v_mul_u32_u24_dpp v64, v17, v54 row_newbcast:1 row_mask:0xf bank_mask:0xf// 00000000A79C: 10806CFA FF015111
	v_mul_u32_u24_dpp v65, v17, v54 row_newbcast:5 row_mask:0xf bank_mask:0xf// 00000000A7A4: 10826CFA FF015511
	v_mul_u32_u24_dpp v66, v17, v54 row_newbcast:9 row_mask:0xf bank_mask:0xf// 00000000A7AC: 10846CFA FF015911
	v_mul_u32_u24_dpp v67, v17, v54 row_newbcast:13 row_mask:0xf bank_mask:0xf// 00000000A7B4: 10866CFA FF015D11
	v_add_u32_e32 v34, v64, v6                                 // 00000000A7BC: 68440D40
	v_add_u32_e32 v35, v65, v6                                 // 00000000A7C0: 68460D41
	v_add_u32_e32 v36, v66, v6                                 // 00000000A7C4: 68480D42
	v_add_u32_e32 v37, v67, v6                                 // 00000000A7C8: 684A0D43
	v_mul_f32_e32 v208, v49, v208                              // 00000000A7CC: 0BA1A131
	v_mul_f32_e32 v209, v49, v209                              // 00000000A7D0: 0BA3A331
	v_mul_f32_e32 v210, v49, v210                              // 00000000A7D4: 0BA5A531
	v_mul_f32_e32 v211, v49, v211                              // 00000000A7D8: 0BA7A731
	v_mul_f32_e32 v212, v49, v212                              // 00000000A7DC: 0BA9A931
	v_mul_f32_e32 v213, v49, v213                              // 00000000A7E0: 0BABAB31
	v_mul_f32_e32 v214, v49, v214                              // 00000000A7E4: 0BADAD31
	v_mul_f32_e32 v215, v49, v215                              // 00000000A7E8: 0BAFAF31
	s_waitcnt lgkmcnt(0)                                       // 00000000A7EC: BF8CC07F
	s_barrier                                                  // 00000000A7F0: BF8A0000
	ds_read_b32 v64, v7 offset:16896                           // 00000000A7F4: D86C4200 40000007
	ds_read_b32 v65, v7 offset:16960                           // 00000000A7FC: D86C4240 41000007
	ds_read_b32 v66, v7 offset:17024                           // 00000000A804: D86C4280 42000007
	ds_read_b32 v67, v7 offset:17088                           // 00000000A80C: D86C42C0 43000007
	ds_read_b32 v68, v7 offset:17152                           // 00000000A814: D86C4300 44000007
	ds_read_b32 v69, v7 offset:17216                           // 00000000A81C: D86C4340 45000007
	ds_read_b32 v70, v7 offset:17280                           // 00000000A824: D86C4380 46000007
	ds_read_b32 v71, v7 offset:17344                           // 00000000A82C: D86C43C0 47000007
	ds_read_b32 v72, v7 offset:17408                           // 00000000A834: D86C4400 48000007
	ds_read_b32 v73, v7 offset:17472                           // 00000000A83C: D86C4440 49000007
	ds_read_b32 v74, v7 offset:17536                           // 00000000A844: D86C4480 4A000007
	ds_read_b32 v75, v7 offset:17600                           // 00000000A84C: D86C44C0 4B000007
	ds_read_b32 v76, v7 offset:17664                           // 00000000A854: D86C4500 4C000007
	ds_read_b32 v77, v7 offset:17728                           // 00000000A85C: D86C4540 4D000007
	ds_read_b32 v78, v7 offset:17792                           // 00000000A864: D86C4580 4E000007
	ds_read_b32 v79, v7 offset:17856                           // 00000000A86C: D86C45C0 4F000007
	buffer_load_dwordx4 a[60:63], v29, s[16:19], 0 offen offset:1024// 00000000A874: E05C1400 80843C1D
	v_mul_f32_e32 v176, v44, v176                              // 00000000A87C: 0B61612C
	v_mul_f32_e32 v177, v44, v177                              // 00000000A880: 0B63632C
	v_mul_f32_e32 v178, v44, v178                              // 00000000A884: 0B65652C
	v_mul_f32_e32 v179, v44, v179                              // 00000000A888: 0B67672C
	v_mul_f32_e32 v180, v44, v180                              // 00000000A88C: 0B69692C
	v_mul_f32_e32 v181, v44, v181                              // 00000000A890: 0B6B6B2C
	v_mul_f32_e32 v182, v44, v182                              // 00000000A894: 0B6D6D2C
	v_mul_f32_e32 v183, v44, v183                              // 00000000A898: 0B6F6F2C
	s_waitcnt lgkmcnt(0)                                       // 00000000A89C: BF8CC07F
	v_max3_f32 v48, v64, v65, v48                              // 00000000A8A0: D1D30030 04C28340
	v_max3_f32 v48, v66, v67, v48                              // 00000000A8A8: D1D30030 04C28742
	v_max3_f32 v48, v68, v69, v48                              // 00000000A8B0: D1D30030 04C28B44
	v_max3_f32 v48, v70, v71, v48                              // 00000000A8B8: D1D30030 04C28F46
	v_max3_f32 v48, v72, v73, v48                              // 00000000A8C0: D1D30030 04C29348
	v_max3_f32 v48, v74, v75, v48                              // 00000000A8C8: D1D30030 04C2974A
	v_max3_f32 v48, v76, v77, v48                              // 00000000A8D0: D1D30030 04C29B4C
	v_max3_f32 v48, v78, v79, v48                              // 00000000A8D8: D1D30030 04C29F4E
	buffer_load_dwordx4 a[96:99], v34, s[20:23], 0 offen       // 00000000A8E0: E05C1000 80856022
	v_mov_b32_e32 v64, 0xff800000                              // 00000000A8E8: 7E8002FF FF800000
	v_cmp_eq_u32_e64 s[40:41], v64, v11                        // 00000000A8F0: D0CA0028 00021740
	s_nop 1                                                    // 00000000A8F8: BF800001
	v_max_f32_e32 v15, v48, v11                                // 00000000A8FC: 161E1730
	v_mul_f32_e32 v53, s64, v15                                // 00000000A900: 0A6A1E40
	v_fma_f32 v112, v112, s64, -v53                            // 00000000A904: D1CB0070 84D48170
	v_fma_f32 v113, v113, s64, -v53                            // 00000000A90C: D1CB0071 84D48171
	v_fma_f32 v114, v114, s64, -v53                            // 00000000A914: D1CB0072 84D48172
	v_fma_f32 v115, v115, s64, -v53                            // 00000000A91C: D1CB0073 84D48173
	v_fma_f32 v116, v116, s64, -v53                            // 00000000A924: D1CB0074 84D48174
	v_fma_f32 v117, v117, s64, -v53                            // 00000000A92C: D1CB0075 84D48175
	v_fma_f32 v118, v118, s64, -v53                            // 00000000A934: D1CB0076 84D48176
	v_fma_f32 v119, v119, s64, -v53                            // 00000000A93C: D1CB0077 84D48177
	v_fma_f32 v120, v120, s64, -v53                            // 00000000A944: D1CB0078 84D48178
	v_fma_f32 v121, v121, s64, -v53                            // 00000000A94C: D1CB0079 84D48179
	v_fma_f32 v122, v122, s64, -v53                            // 00000000A954: D1CB007A 84D4817A
	v_fma_f32 v123, v123, s64, -v53                            // 00000000A95C: D1CB007B 84D4817B
	v_fma_f32 v124, v124, s64, -v53                            // 00000000A964: D1CB007C 84D4817C
	v_fma_f32 v125, v125, s64, -v53                            // 00000000A96C: D1CB007D 84D4817D
	v_fma_f32 v126, v126, s64, -v53                            // 00000000A974: D1CB007E 84D4817E
	v_fma_f32 v127, v127, s64, -v53                            // 00000000A97C: D1CB007F 84D4817F
	buffer_load_dwordx4 a[100:103], v35, s[20:23], 0 offen     // 00000000A984: E05C1000 80856423
	v_exp_f32_e32 v112, v112                                   // 00000000A98C: 7EE04170
	v_exp_f32_e32 v113, v113                                   // 00000000A990: 7EE24171
	v_exp_f32_e32 v114, v114                                   // 00000000A994: 7EE44172
	v_exp_f32_e32 v115, v115                                   // 00000000A998: 7EE64173
	v_exp_f32_e32 v116, v116                                   // 00000000A99C: 7EE84174
	v_exp_f32_e32 v117, v117                                   // 00000000A9A0: 7EEA4175
	v_exp_f32_e32 v118, v118                                   // 00000000A9A4: 7EEC4176
	v_exp_f32_e32 v119, v119                                   // 00000000A9A8: 7EEE4177
	v_exp_f32_e32 v120, v120                                   // 00000000A9AC: 7EF04178
	v_exp_f32_e32 v121, v121                                   // 00000000A9B0: 7EF24179
	v_exp_f32_e32 v122, v122                                   // 00000000A9B4: 7EF4417A
	v_exp_f32_e32 v123, v123                                   // 00000000A9B8: 7EF6417B
	v_exp_f32_e32 v124, v124                                   // 00000000A9BC: 7EF8417C
	v_exp_f32_e32 v125, v125                                   // 00000000A9C0: 7EFA417D
	v_exp_f32_e32 v126, v126                                   // 00000000A9C4: 7EFC417E
	v_exp_f32_e32 v127, v127                                   // 00000000A9C8: 7EFE417F
	buffer_load_dwordx4 a[104:107], v36, s[20:23], 0 offen     // 00000000A9CC: E05C1000 80856824
	v_mul_f32_dpp v240, v252, v112 quad_perm:[0,0,0,0] row_mask:0xf bank_mask:0xf// 00000000A9D4: 0BE0E0FA FF0000FC
	v_mul_f32_dpp v241, v252, v113 quad_perm:[1,1,1,1] row_mask:0xf bank_mask:0xf// 00000000A9DC: 0BE2E2FA FF0055FC
	v_mul_f32_dpp v242, v252, v114 quad_perm:[2,2,2,2] row_mask:0xf bank_mask:0xf// 00000000A9E4: 0BE4E4FA FF00AAFC
	v_mul_f32_dpp v243, v252, v115 quad_perm:[3,3,3,3] row_mask:0xf bank_mask:0xf// 00000000A9EC: 0BE6E6FA FF00FFFC
	v_mul_f32_dpp v244, v253, v116 quad_perm:[0,0,0,0] row_mask:0xf bank_mask:0xf// 00000000A9F4: 0BE8E8FA FF0000FD
	v_mul_f32_dpp v245, v253, v117 quad_perm:[1,1,1,1] row_mask:0xf bank_mask:0xf// 00000000A9FC: 0BEAEAFA FF0055FD
	v_mul_f32_dpp v246, v253, v118 quad_perm:[2,2,2,2] row_mask:0xf bank_mask:0xf// 00000000AA04: 0BECECFA FF00AAFD
	v_mul_f32_dpp v247, v253, v119 quad_perm:[3,3,3,3] row_mask:0xf bank_mask:0xf// 00000000AA0C: 0BEEEEFA FF00FFFD
	v_mul_f32_dpp v248, v254, v120 quad_perm:[0,0,0,0] row_mask:0xf bank_mask:0xf// 00000000AA14: 0BF0F0FA FF0000FE
	v_mul_f32_dpp v249, v254, v121 quad_perm:[1,1,1,1] row_mask:0xf bank_mask:0xf// 00000000AA1C: 0BF2F2FA FF0055FE
	v_mul_f32_dpp v250, v254, v122 quad_perm:[2,2,2,2] row_mask:0xf bank_mask:0xf// 00000000AA24: 0BF4F4FA FF00AAFE
	v_mul_f32_dpp v251, v254, v123 quad_perm:[3,3,3,3] row_mask:0xf bank_mask:0xf// 00000000AA2C: 0BF6F6FA FF00FFFE
	v_mul_f32_dpp v252, v255, v124 quad_perm:[0,0,0,0] row_mask:0xf bank_mask:0xf// 00000000AA34: 0BF8F8FA FF0000FF
	v_mul_f32_dpp v253, v255, v125 quad_perm:[1,1,1,1] row_mask:0xf bank_mask:0xf// 00000000AA3C: 0BFAFAFA FF0055FF
	v_mul_f32_dpp v254, v255, v126 quad_perm:[2,2,2,2] row_mask:0xf bank_mask:0xf// 00000000AA44: 0BFCFCFA FF00AAFF
	v_mul_f32_dpp v255, v255, v127 quad_perm:[3,3,3,3] row_mask:0xf bank_mask:0xf// 00000000AA4C: 0BFEFEFA FF00FFFF
	v_mov_b32_e32 v48, 0x358637bd                              // 00000000AA54: 7E6002FF 358637BD
	v_max3_f32 v48, |v240|, |v241|, v48                        // 00000000AA5C: D1D30330 04C3E3F0
	v_max3_f32 v48, |v242|, |v243|, v48                        // 00000000AA64: D1D30330 04C3E7F2
	v_max3_f32 v48, |v244|, |v245|, v48                        // 00000000AA6C: D1D30330 04C3EBF4
	v_max3_f32 v48, |v246|, |v247|, v48                        // 00000000AA74: D1D30330 04C3EFF6
	v_max3_f32 v48, |v248|, |v249|, v48                        // 00000000AA7C: D1D30330 04C3F3F8
	v_max3_f32 v48, |v250|, |v251|, v48                        // 00000000AA84: D1D30330 04C3F7FA
	v_max3_f32 v48, |v252|, |v253|, v48                        // 00000000AA8C: D1D30330 04C3FBFC
	v_max3_f32 v48, |v254|, |v255|, v48                        // 00000000AA94: D1D30330 04C3FFFE
	buffer_load_dwordx4 a[108:111], v37, s[20:23], 0 offen     // 00000000AA9C: E05C1000 80856C25
	ds_write_b32 v8, v48 offset:20992                          // 00000000AAA4: D81A5200 00003008
	v_sub_f32_e32 v49, v11, v15                                // 00000000AAAC: 04621F0B
	v_cndmask_b32_e64 v49, v49, 0, s[40:41]                    // 00000000AAB0: D1000031 00A10131
	v_mov_b32_e32 v11, v15                                     // 00000000AAB8: 7E16030F
	v_mul_f32_e32 v49, s64, v49                                // 00000000AABC: 0A626240
	v_exp_f32_e32 v49, v49                                     // 00000000AAC0: 7E624131
	s_waitcnt lgkmcnt(0)                                       // 00000000AAC4: BF8CC07F
	s_barrier                                                  // 00000000AAC8: BF8A0000
	ds_read_b32 v64, v7 offset:20992                           // 00000000AACC: D86C5200 40000007
	ds_read_b32 v65, v7 offset:21056                           // 00000000AAD4: D86C5240 41000007
	ds_read_b32 v66, v7 offset:21120                           // 00000000AADC: D86C5280 42000007
	ds_read_b32 v67, v7 offset:21184                           // 00000000AAE4: D86C52C0 43000007
	ds_read_b32 v68, v7 offset:21248                           // 00000000AAEC: D86C5300 44000007
	ds_read_b32 v69, v7 offset:21312                           // 00000000AAF4: D86C5340 45000007
	ds_read_b32 v70, v7 offset:21376                           // 00000000AAFC: D86C5380 46000007
	ds_read_b32 v71, v7 offset:21440                           // 00000000AB04: D86C53C0 47000007
	ds_read_b32 v72, v7 offset:21504                           // 00000000AB0C: D86C5400 48000007
	ds_read_b32 v73, v7 offset:21568                           // 00000000AB14: D86C5440 49000007
	ds_read_b32 v74, v7 offset:21632                           // 00000000AB1C: D86C5480 4A000007
	ds_read_b32 v75, v7 offset:21696                           // 00000000AB24: D86C54C0 4B000007
	ds_read_b32 v76, v7 offset:21760                           // 00000000AB2C: D86C5500 4C000007
	ds_read_b32 v77, v7 offset:21824                           // 00000000AB34: D86C5540 4D000007
	ds_read_b32 v78, v7 offset:21888                           // 00000000AB3C: D86C5580 4E000007
	ds_read_b32 v79, v7 offset:21952                           // 00000000AB44: D86C55C0 4F000007
	v_mul_f32_e32 v38, v49, v38                                // 00000000AB4C: 0A4C4D31
	v_mov_b32_e32 v15, v112                                    // 00000000AB50: 7E1E0370
	v_add_f32_e32 v15, v113, v15                               // 00000000AB54: 021E1F71
	v_add_f32_e32 v15, v114, v15                               // 00000000AB58: 021E1F72
	v_add_f32_e32 v15, v115, v15                               // 00000000AB5C: 021E1F73
	v_add_f32_e32 v15, v116, v15                               // 00000000AB60: 021E1F74
	v_add_f32_e32 v15, v117, v15                               // 00000000AB64: 021E1F75
	v_add_f32_e32 v15, v118, v15                               // 00000000AB68: 021E1F76
	v_add_f32_e32 v15, v119, v15                               // 00000000AB6C: 021E1F77
	v_add_f32_e32 v15, v120, v15                               // 00000000AB70: 021E1F78
	v_add_f32_e32 v15, v121, v15                               // 00000000AB74: 021E1F79
	v_add_f32_e32 v15, v122, v15                               // 00000000AB78: 021E1F7A
	v_add_f32_e32 v15, v123, v15                               // 00000000AB7C: 021E1F7B
	v_add_f32_e32 v15, v124, v15                               // 00000000AB80: 021E1F7C
	v_add_f32_e32 v15, v125, v15                               // 00000000AB84: 021E1F7D
	v_add_f32_e32 v15, v126, v15                               // 00000000AB88: 021E1F7E
	v_add_f32_e32 v15, v127, v15                               // 00000000AB8C: 021E1F7F
	v_add_f32_e32 v38, v15, v38                                // 00000000AB90: 024C4D0F
	s_waitcnt lgkmcnt(0)                                       // 00000000AB94: BF8CC07F
	v_max3_f32 v48, |v64|, |v65|, v48                          // 00000000AB98: D1D30330 04C28340
	v_max3_f32 v48, |v66|, |v67|, v48                          // 00000000ABA0: D1D30330 04C28742
	v_max3_f32 v48, |v68|, |v69|, v48                          // 00000000ABA8: D1D30330 04C28B44
	v_max3_f32 v48, |v70|, |v71|, v48                          // 00000000ABB0: D1D30330 04C28F46
	v_max3_f32 v48, |v72|, |v73|, v48                          // 00000000ABB8: D1D30330 04C29348
	v_max3_f32 v48, |v74|, |v75|, v48                          // 00000000ABC0: D1D30330 04C2974A
	v_max3_f32 v48, |v76|, |v77|, v48                          // 00000000ABC8: D1D30330 04C29B4C
	v_max3_f32 v48, |v78|, |v79|, v48                          // 00000000ABD0: D1D30330 04C29F4E
	s_nop 2                                                    // 00000000ABD8: BF800002
	v_rcp_f32_e32 v48, v48                                     // 00000000ABDC: 7E604530
	s_nop 1                                                    // 00000000ABE0: BF800001
	v_mul_f32_e32 v48, 0x43700000, v48                         // 00000000ABE4: 0A6060FF 43700000
	v_mul_f32_e32 v112, v48, v240                              // 00000000ABEC: 0AE1E130
	v_mul_f32_e32 v113, v48, v241                              // 00000000ABF0: 0AE3E330
	v_mul_f32_e32 v114, v48, v242                              // 00000000ABF4: 0AE5E530
	v_mul_f32_e32 v115, v48, v243                              // 00000000ABF8: 0AE7E730
	v_mul_f32_e32 v116, v48, v244                              // 00000000ABFC: 0AE9E930
	v_mul_f32_e32 v117, v48, v245                              // 00000000AC00: 0AEBEB30
	v_mul_f32_e32 v118, v48, v246                              // 00000000AC04: 0AEDED30
	v_mul_f32_e32 v119, v48, v247                              // 00000000AC08: 0AEFEF30
	v_mul_f32_e32 v120, v48, v248                              // 00000000AC0C: 0AF1F130
	v_mul_f32_e32 v121, v48, v249                              // 00000000AC10: 0AF3F330
	v_mul_f32_e32 v122, v48, v250                              // 00000000AC14: 0AF5F530
	v_mul_f32_e32 v123, v48, v251                              // 00000000AC18: 0AF7F730
	v_mul_f32_e32 v124, v48, v252                              // 00000000AC1C: 0AF9F930
	v_mul_f32_e32 v125, v48, v253                              // 00000000AC20: 0AFBFB30
	v_mul_f32_e32 v126, v48, v254                              // 00000000AC24: 0AFDFD30
	v_mul_f32_e32 v127, v48, v255                              // 00000000AC28: 0AFFFF30
	v_cvt_pk_fp8_f32 v112, v112, v113                          // 00000000AC2C: D2A20070 0002E370
	v_cvt_pk_fp8_f32 v112, v114, v115 op_sel:[0,0,1]           // 00000000AC34: D2A24070 0002E772
	v_cvt_pk_fp8_f32 v113, v116, v117                          // 00000000AC3C: D2A20071 0002EB74
	v_cvt_pk_fp8_f32 v113, v118, v119 op_sel:[0,0,1]           // 00000000AC44: D2A24071 0002EF76
	v_cvt_pk_fp8_f32 v114, v120, v121                          // 00000000AC4C: D2A20072 0002F378
	v_cvt_pk_fp8_f32 v114, v122, v123 op_sel:[0,0,1]           // 00000000AC54: D2A24072 0002F77A
	v_cvt_pk_fp8_f32 v115, v124, v125                          // 00000000AC5C: D2A20073 0002FB7C
	v_cvt_pk_fp8_f32 v115, v126, v127 op_sel:[0,0,1]           // 00000000AC64: D2A24073 0002FF7E
	ds_write_b32 v10, v112 offset:25088                        // 00000000AC6C: D81A6200 0000700A
	ds_write_b32 v10, v113 offset:26112                        // 00000000AC74: D81A6600 0000710A
	ds_write_b32 v10, v114 offset:27136                        // 00000000AC7C: D81A6A00 0000720A
	ds_write_b32 v10, v115 offset:28160                        // 00000000AC84: D81A6E00 0000730A
	v_add_f32_e32 v208, v208, v176                             // 00000000AC8C: 03A161D0
	v_add_f32_e32 v209, v209, v177                             // 00000000AC90: 03A363D1
	v_add_f32_e32 v210, v210, v178                             // 00000000AC94: 03A565D2
	v_add_f32_e32 v211, v211, v179                             // 00000000AC98: 03A767D3
	v_add_f32_e32 v212, v212, v180                             // 00000000AC9C: 03A969D4
	v_add_f32_e32 v213, v213, v181                             // 00000000ACA0: 03AB6BD5
	v_add_f32_e32 v214, v214, v182                             // 00000000ACA4: 03AD6DD6
	v_add_f32_e32 v215, v215, v183                             // 00000000ACA8: 03AF6FD7
	v_rcp_f32_e32 v44, v48                                     // 00000000ACAC: 7E584530
	s_waitcnt lgkmcnt(0)                                       // 00000000ACB0: BF8CC07F
	s_barrier                                                  // 00000000ACB4: BF8A0000
	ds_read_b64 v[112:113], v9 offset:25088                    // 00000000ACB8: D8EC6200 70000009
	ds_read_b64 v[114:115], v9 offset:25216                    // 00000000ACC0: D8EC6280 72000009
	ds_read_b64 v[116:117], v9 offset:26112                    // 00000000ACC8: D8EC6600 74000009
	ds_read_b64 v[118:119], v9 offset:26240                    // 00000000ACD0: D8EC6680 76000009
	ds_read_b64 v[120:121], v9 offset:27136                    // 00000000ACD8: D8EC6A00 78000009
	ds_read_b64 v[122:123], v9 offset:27264                    // 00000000ACE0: D8EC6A80 7A000009
	ds_read_b64 v[124:125], v9 offset:28160                    // 00000000ACE8: D8EC6E00 7C000009
	ds_read_b64 v[126:127], v9 offset:28288                    // 00000000ACF0: D8EC6E80 7E000009
	v_mov_b32_dpp v64, v42 row_shr:4 row_mask:0xf bank_mask:0xf// 00000000ACF8: 7E8002FA FF01142A
	v_mov_b32_dpp v65, v42 row_shl:4 row_mask:0xf bank_mask:0xf// 00000000AD00: 7E8202FA FF01042A
	v_cndmask_b32_e64 v248, v42, v64, s[44:45]                 // 00000000AD08: D10000F8 00B2812A
	v_cndmask_b32_e64 v249, v65, v42, s[44:45]                 // 00000000AD10: D10000F9 00B25541
	v_mov_b32_dpp v64, v248 row_shr:8 row_mask:0xf bank_mask:0xf// 00000000AD18: 7E8002FA FF0118F8
	v_mov_b32_dpp v65, v248 row_shl:8 row_mask:0xf bank_mask:0xf// 00000000AD20: 7E8202FA FF0108F8
	v_mov_b32_dpp v66, v249 row_shr:8 row_mask:0xf bank_mask:0xf// 00000000AD28: 7E8402FA FF0118F9
	v_mov_b32_dpp v67, v249 row_shl:8 row_mask:0xf bank_mask:0xf// 00000000AD30: 7E8602FA FF0108F9
	v_mov_b32_e32 v68, v248                                    // 00000000AD38: 7E8803F8
	v_mov_b32_e32 v69, v249                                    // 00000000AD3C: 7E8A03F9
	v_cndmask_b32_e64 v248, v68, v64, s[42:43]                 // 00000000AD40: D10000F8 00AA8144
	v_cndmask_b32_e64 v250, v68, v65, s[78:79]                 // 00000000AD48: D10000FA 013A8344
	v_cndmask_b32_e64 v249, v69, v66, s[42:43]                 // 00000000AD50: D10000F9 00AA8545
	v_cndmask_b32_e64 v251, v69, v67, s[78:79]                 // 00000000AD58: D10000FB 013A8745
	v_mov_b32_dpp v64, v57 row_shr:4 row_mask:0xf bank_mask:0xf// 00000000AD60: 7E8002FA FF011439
	v_mov_b32_dpp v65, v57 row_shl:4 row_mask:0xf bank_mask:0xf// 00000000AD68: 7E8202FA FF010439
	v_cndmask_b32_e64 v252, v57, v64, s[44:45]                 // 00000000AD70: D10000FC 00B28139
	v_cndmask_b32_e64 v253, v65, v57, s[44:45]                 // 00000000AD78: D10000FD 00B27341
	v_mov_b32_dpp v64, v252 row_shr:8 row_mask:0xf bank_mask:0xf// 00000000AD80: 7E8002FA FF0118FC
	v_mov_b32_dpp v65, v252 row_shl:8 row_mask:0xf bank_mask:0xf// 00000000AD88: 7E8202FA FF0108FC
	v_mov_b32_dpp v66, v253 row_shr:8 row_mask:0xf bank_mask:0xf// 00000000AD90: 7E8402FA FF0118FD
	v_mov_b32_dpp v67, v253 row_shl:8 row_mask:0xf bank_mask:0xf// 00000000AD98: 7E8602FA FF0108FD
	v_mov_b32_e32 v68, v252                                    // 00000000ADA0: 7E8803FC
	v_mov_b32_e32 v69, v253                                    // 00000000ADA4: 7E8A03FD
	v_cndmask_b32_e64 v252, v68, v64, s[42:43]                 // 00000000ADA8: D10000FC 00AA8144
	v_cndmask_b32_e64 v254, v68, v65, s[78:79]                 // 00000000ADB0: D10000FE 013A8344
	v_cndmask_b32_e64 v253, v69, v66, s[42:43]                 // 00000000ADB8: D10000FD 00AA8545
	v_cndmask_b32_e64 v255, v69, v67, s[78:79]                 // 00000000ADC0: D10000FF 013A8745
	v_mul_f32_e32 v128, v19, v128                              // 00000000ADC8: 0B010113
	v_mul_f32_e32 v129, v19, v129                              // 00000000ADCC: 0B030313
	v_mul_f32_e32 v130, v19, v130                              // 00000000ADD0: 0B050513
	v_mul_f32_e32 v131, v19, v131                              // 00000000ADD4: 0B070713
	v_mul_f32_e32 v132, v19, v132                              // 00000000ADD8: 0B090913
	v_mul_f32_e32 v133, v19, v133                              // 00000000ADDC: 0B0B0B13
	v_mul_f32_e32 v134, v19, v134                              // 00000000ADE0: 0B0D0D13
	v_mul_f32_e32 v135, v19, v135                              // 00000000ADE4: 0B0F0F13
	v_mul_f32_e32 v136, v19, v136                              // 00000000ADE8: 0B111113
	v_mul_f32_e32 v137, v19, v137                              // 00000000ADEC: 0B131313
	v_mul_f32_e32 v138, v19, v138                              // 00000000ADF0: 0B151513
	v_mul_f32_e32 v139, v19, v139                              // 00000000ADF4: 0B171713
	v_mul_f32_e32 v140, v19, v140                              // 00000000ADF8: 0B191913
	v_mul_f32_e32 v141, v19, v141                              // 00000000ADFC: 0B1B1B13
	v_mul_f32_e32 v142, v19, v142                              // 00000000AE00: 0B1D1D13
	v_mul_f32_e32 v143, v19, v143                              // 00000000AE04: 0B1F1F13
	v_mul_f32_dpp v128, v248, v128 quad_perm:[0,0,0,0] row_mask:0xf bank_mask:0xf// 00000000AE08: 0B0100FA FF0000F8
	v_mul_f32_dpp v129, v248, v129 quad_perm:[1,1,1,1] row_mask:0xf bank_mask:0xf// 00000000AE10: 0B0302FA FF0055F8
	v_mul_f32_dpp v130, v248, v130 quad_perm:[2,2,2,2] row_mask:0xf bank_mask:0xf// 00000000AE18: 0B0504FA FF00AAF8
	v_mul_f32_dpp v131, v248, v131 quad_perm:[3,3,3,3] row_mask:0xf bank_mask:0xf// 00000000AE20: 0B0706FA FF00FFF8
	v_mul_f32_dpp v132, v249, v132 quad_perm:[0,0,0,0] row_mask:0xf bank_mask:0xf// 00000000AE28: 0B0908FA FF0000F9
	v_mul_f32_dpp v133, v249, v133 quad_perm:[1,1,1,1] row_mask:0xf bank_mask:0xf// 00000000AE30: 0B0B0AFA FF0055F9
	v_mul_f32_dpp v134, v249, v134 quad_perm:[2,2,2,2] row_mask:0xf bank_mask:0xf// 00000000AE38: 0B0D0CFA FF00AAF9
	v_mul_f32_dpp v135, v249, v135 quad_perm:[3,3,3,3] row_mask:0xf bank_mask:0xf// 00000000AE40: 0B0F0EFA FF00FFF9
	v_mul_f32_dpp v136, v250, v136 quad_perm:[0,0,0,0] row_mask:0xf bank_mask:0xf// 00000000AE48: 0B1110FA FF0000FA
	v_mul_f32_dpp v137, v250, v137 quad_perm:[1,1,1,1] row_mask:0xf bank_mask:0xf// 00000000AE50: 0B1312FA FF0055FA
	v_mul_f32_dpp v138, v250, v138 quad_perm:[2,2,2,2] row_mask:0xf bank_mask:0xf// 00000000AE58: 0B1514FA FF00AAFA
	v_mul_f32_dpp v139, v250, v139 quad_perm:[3,3,3,3] row_mask:0xf bank_mask:0xf// 00000000AE60: 0B1716FA FF00FFFA
	v_mul_f32_dpp v140, v251, v140 quad_perm:[0,0,0,0] row_mask:0xf bank_mask:0xf// 00000000AE68: 0B1918FA FF0000FB
	v_mul_f32_dpp v141, v251, v141 quad_perm:[1,1,1,1] row_mask:0xf bank_mask:0xf// 00000000AE70: 0B1B1AFA FF0055FB
	v_mul_f32_dpp v142, v251, v142 quad_perm:[2,2,2,2] row_mask:0xf bank_mask:0xf// 00000000AE78: 0B1D1CFA FF00AAFB
	v_mul_f32_dpp v143, v251, v143 quad_perm:[3,3,3,3] row_mask:0xf bank_mask:0xf// 00000000AE80: 0B1F1EFA FF00FFFB
	s_cmp_le_i32 s90, s89                                      // 00000000AE88: BF05595A
	s_cbranch_scc1 label_2395                                  // 00000000AE8C: BF850071
	v_mov_b32_e32 v66, 0xff800000                              // 00000000AE90: 7E8402FF FF800000
	s_mov_b32 s60, s90                                         // 00000000AE98: BEBC005A
	s_add_u32 s61, s89, 0xff                                   // 00000000AE9C: 803DFF59 000000FF
	v_mov_b32_e32 v64, s61                                     // 00000000AEA4: 7E80023D
	v_lshrrev_b32_e32 v240, 4, v0                              // 00000000AEA8: 21E00084
	v_mul_i32_i24_e32 v240, 4, v240                            // 00000000AEAC: 0DE1E084
	v_add_u32_e32 v240, s60, v240                              // 00000000AEB0: 69E1E03C
	s_mov_b32 s61, 1                                           // 00000000AEB4: BEBD0081
	s_mul_i32 s60, 16, s7                                      // 00000000AEB8: 923C0790
	v_sub_u32_e64 v240, v240, s61                              // 00000000AEBC: D13500F0 00007BF0
	v_add_u32_e32 v240, s60, v240                              // 00000000AEC4: 69E1E03C
	v_add_u32_e32 v241, 1, v240                                // 00000000AEC8: 69E3E081
	v_add_u32_e32 v242, 2, v240                                // 00000000AECC: 69E5E082
	v_add_u32_e32 v243, 3, v240                                // 00000000AED0: 69E7E083
	v_cmp_le_u32_e64 s[40:41], v240, v64                       // 00000000AED4: D0CB0028 000281F0
	v_add_u32_e32 v240, 64, v240                               // 00000000AEDC: 69E1E0C0
	s_nop 0                                                    // 00000000AEE0: BF800000
	v_cndmask_b32_e64 v128, v66, v128, s[40:41]                // 00000000AEE4: D1000080 00A30142
	v_cmp_le_u32_e64 s[40:41], v241, v64                       // 00000000AEEC: D0CB0028 000281F1
	v_add_u32_e32 v241, 64, v241                               // 00000000AEF4: 69E3E2C0
	s_nop 0                                                    // 00000000AEF8: BF800000
	v_cndmask_b32_e64 v129, v66, v129, s[40:41]                // 00000000AEFC: D1000081 00A30342
	v_cmp_le_u32_e64 s[40:41], v242, v64                       // 00000000AF04: D0CB0028 000281F2
	v_add_u32_e32 v242, 64, v242                               // 00000000AF0C: 69E5E4C0
	s_nop 0                                                    // 00000000AF10: BF800000
	v_cndmask_b32_e64 v130, v66, v130, s[40:41]                // 00000000AF14: D1000082 00A30542
	v_cmp_le_u32_e64 s[40:41], v243, v64                       // 00000000AF1C: D0CB0028 000281F3
	v_add_u32_e32 v243, 64, v243                               // 00000000AF24: 69E7E6C0
	s_nop 0                                                    // 00000000AF28: BF800000
	v_cndmask_b32_e64 v131, v66, v131, s[40:41]                // 00000000AF2C: D1000083 00A30742
	v_cmp_le_u32_e64 s[40:41], v240, v64                       // 00000000AF34: D0CB0028 000281F0
	v_add_u32_e32 v240, 64, v240                               // 00000000AF3C: 69E1E0C0
	s_nop 0                                                    // 00000000AF40: BF800000
	v_cndmask_b32_e64 v132, v66, v132, s[40:41]                // 00000000AF44: D1000084 00A30942
	v_cmp_le_u32_e64 s[40:41], v241, v64                       // 00000000AF4C: D0CB0028 000281F1
	v_add_u32_e32 v241, 64, v241                               // 00000000AF54: 69E3E2C0
	s_nop 0                                                    // 00000000AF58: BF800000
	v_cndmask_b32_e64 v133, v66, v133, s[40:41]                // 00000000AF5C: D1000085 00A30B42
	v_cmp_le_u32_e64 s[40:41], v242, v64                       // 00000000AF64: D0CB0028 000281F2
	v_add_u32_e32 v242, 64, v242                               // 00000000AF6C: 69E5E4C0
	s_nop 0                                                    // 00000000AF70: BF800000
	v_cndmask_b32_e64 v134, v66, v134, s[40:41]                // 00000000AF74: D1000086 00A30D42
	v_cmp_le_u32_e64 s[40:41], v243, v64                       // 00000000AF7C: D0CB0028 000281F3
	v_add_u32_e32 v243, 64, v243                               // 00000000AF84: 69E7E6C0
	s_nop 0                                                    // 00000000AF88: BF800000
	v_cndmask_b32_e64 v135, v66, v135, s[40:41]                // 00000000AF8C: D1000087 00A30F42
	v_cmp_le_u32_e64 s[40:41], v240, v64                       // 00000000AF94: D0CB0028 000281F0
	v_add_u32_e32 v240, 64, v240                               // 00000000AF9C: 69E1E0C0
	s_nop 0                                                    // 00000000AFA0: BF800000
	v_cndmask_b32_e64 v136, v66, v136, s[40:41]                // 00000000AFA4: D1000088 00A31142
	v_cmp_le_u32_e64 s[40:41], v241, v64                       // 00000000AFAC: D0CB0028 000281F1
	v_add_u32_e32 v241, 64, v241                               // 00000000AFB4: 69E3E2C0
	s_nop 0                                                    // 00000000AFB8: BF800000
	v_cndmask_b32_e64 v137, v66, v137, s[40:41]                // 00000000AFBC: D1000089 00A31342
	v_cmp_le_u32_e64 s[40:41], v242, v64                       // 00000000AFC4: D0CB0028 000281F2
	v_add_u32_e32 v242, 64, v242                               // 00000000AFCC: 69E5E4C0
	s_nop 0                                                    // 00000000AFD0: BF800000
	v_cndmask_b32_e64 v138, v66, v138, s[40:41]                // 00000000AFD4: D100008A 00A31542
	v_cmp_le_u32_e64 s[40:41], v243, v64                       // 00000000AFDC: D0CB0028 000281F3
	v_add_u32_e32 v243, 64, v243                               // 00000000AFE4: 69E7E6C0
	s_nop 0                                                    // 00000000AFE8: BF800000
	v_cndmask_b32_e64 v139, v66, v139, s[40:41]                // 00000000AFEC: D100008B 00A31742
	v_cmp_le_u32_e64 s[40:41], v240, v64                       // 00000000AFF4: D0CB0028 000281F0
	v_add_u32_e32 v240, 64, v240                               // 00000000AFFC: 69E1E0C0
	s_nop 0                                                    // 00000000B000: BF800000
	v_cndmask_b32_e64 v140, v66, v140, s[40:41]                // 00000000B004: D100008C 00A31942
	v_cmp_le_u32_e64 s[40:41], v241, v64                       // 00000000B00C: D0CB0028 000281F1
	v_add_u32_e32 v241, 64, v241                               // 00000000B014: 69E3E2C0
	s_nop 0                                                    // 00000000B018: BF800000
	v_cndmask_b32_e64 v141, v66, v141, s[40:41]                // 00000000B01C: D100008D 00A31B42
	v_cmp_le_u32_e64 s[40:41], v242, v64                       // 00000000B024: D0CB0028 000281F2
	v_add_u32_e32 v242, 64, v242                               // 00000000B02C: 69E5E4C0
	s_nop 0                                                    // 00000000B030: BF800000
	v_cndmask_b32_e64 v142, v66, v142, s[40:41]                // 00000000B034: D100008E 00A31D42
	v_cmp_le_u32_e64 s[40:41], v243, v64                       // 00000000B03C: D0CB0028 000281F3
	v_add_u32_e32 v243, 64, v243                               // 00000000B044: 69E7E6C0
	s_nop 0                                                    // 00000000B048: BF800000
	v_cndmask_b32_e64 v143, v66, v143, s[40:41]                // 00000000B04C: D100008F 00A31F42

000000000000b054 <label_2395>:
	s_add_u32 s90, s91, s90                                    // 00000000B054: 805A5A5B
	v_mov_b32_e32 v48, v128                                    // 00000000B058: 7E600380
	v_max3_f32 v48, v128, v129, v48                            // 00000000B05C: D1D30030 04C30380
	v_max3_f32 v48, v130, v131, v48                            // 00000000B064: D1D30030 04C30782
	v_max3_f32 v48, v132, v133, v48                            // 00000000B06C: D1D30030 04C30B84
	v_max3_f32 v48, v134, v135, v48                            // 00000000B074: D1D30030 04C30F86
	v_max3_f32 v48, v136, v137, v48                            // 00000000B07C: D1D30030 04C31388
	v_max3_f32 v48, v138, v139, v48                            // 00000000B084: D1D30030 04C3178A
	v_max3_f32 v48, v140, v141, v48                            // 00000000B08C: D1D30030 04C31B8C
	v_max3_f32 v48, v142, v143, v48                            // 00000000B094: D1D30030 04C31F8E
	ds_write_b32 v8, v48 offset:16896                          // 00000000B09C: D81A4200 00003008
	v_mul_f32_e32 v216, v50, v216                              // 00000000B0A4: 0BB1B132
	v_mul_f32_e32 v217, v50, v217                              // 00000000B0A8: 0BB3B332
	v_mul_f32_e32 v218, v50, v218                              // 00000000B0AC: 0BB5B532
	v_mul_f32_e32 v219, v50, v219                              // 00000000B0B0: 0BB7B732
	v_mul_f32_e32 v220, v50, v220                              // 00000000B0B4: 0BB9B932
	v_mul_f32_e32 v221, v50, v221                              // 00000000B0B8: 0BBBBB32
	v_mul_f32_e32 v222, v50, v222                              // 00000000B0BC: 0BBDBD32
	v_mul_f32_e32 v223, v50, v223                              // 00000000B0C0: 0BBFBF32
	s_waitcnt lgkmcnt(0)                                       // 00000000B0C4: BF8CC07F
	s_barrier                                                  // 00000000B0C8: BF8A0000
	ds_read_b32 v64, v7 offset:16896                           // 00000000B0CC: D86C4200 40000007
	ds_read_b32 v65, v7 offset:16960                           // 00000000B0D4: D86C4240 41000007
	ds_read_b32 v66, v7 offset:17024                           // 00000000B0DC: D86C4280 42000007
	ds_read_b32 v67, v7 offset:17088                           // 00000000B0E4: D86C42C0 43000007
	ds_read_b32 v68, v7 offset:17152                           // 00000000B0EC: D86C4300 44000007
	ds_read_b32 v69, v7 offset:17216                           // 00000000B0F4: D86C4340 45000007
	ds_read_b32 v70, v7 offset:17280                           // 00000000B0FC: D86C4380 46000007
	ds_read_b32 v71, v7 offset:17344                           // 00000000B104: D86C43C0 47000007
	ds_read_b32 v72, v7 offset:17408                           // 00000000B10C: D86C4400 48000007
	ds_read_b32 v73, v7 offset:17472                           // 00000000B114: D86C4440 49000007
	ds_read_b32 v74, v7 offset:17536                           // 00000000B11C: D86C4480 4A000007
	ds_read_b32 v75, v7 offset:17600                           // 00000000B124: D86C44C0 4B000007
	ds_read_b32 v76, v7 offset:17664                           // 00000000B12C: D86C4500 4C000007
	ds_read_b32 v77, v7 offset:17728                           // 00000000B134: D86C4540 4D000007
	ds_read_b32 v78, v7 offset:17792                           // 00000000B13C: D86C4580 4E000007
	ds_read_b32 v79, v7 offset:17856                           // 00000000B144: D86C45C0 4F000007
	v_mul_f32_e32 v184, v45, v184                              // 00000000B14C: 0B71712D
	v_mul_f32_e32 v185, v45, v185                              // 00000000B150: 0B73732D
	v_mul_f32_e32 v186, v45, v186                              // 00000000B154: 0B75752D
	v_mul_f32_e32 v187, v45, v187                              // 00000000B158: 0B77772D
	v_mul_f32_e32 v188, v45, v188                              // 00000000B15C: 0B79792D
	v_mul_f32_e32 v189, v45, v189                              // 00000000B160: 0B7B7B2D
	v_mul_f32_e32 v190, v45, v190                              // 00000000B164: 0B7D7D2D
	v_mul_f32_e32 v191, v45, v191                              // 00000000B168: 0B7F7F2D
	s_waitcnt lgkmcnt(0)                                       // 00000000B16C: BF8CC07F
	v_max3_f32 v48, v64, v65, v48                              // 00000000B170: D1D30030 04C28340
	v_max3_f32 v48, v66, v67, v48                              // 00000000B178: D1D30030 04C28742
	v_max3_f32 v48, v68, v69, v48                              // 00000000B180: D1D30030 04C28B44
	v_max3_f32 v48, v70, v71, v48                              // 00000000B188: D1D30030 04C28F46
	v_max3_f32 v48, v72, v73, v48                              // 00000000B190: D1D30030 04C29348
	v_max3_f32 v48, v74, v75, v48                              // 00000000B198: D1D30030 04C2974A
	v_max3_f32 v48, v76, v77, v48                              // 00000000B1A0: D1D30030 04C29B4C
	v_max3_f32 v48, v78, v79, v48                              // 00000000B1A8: D1D30030 04C29F4E
	v_mov_b32_e32 v64, 0xff800000                              // 00000000B1B0: 7E8002FF FF800000
	v_cmp_eq_u32_e64 s[40:41], v64, v12                        // 00000000B1B8: D0CA0028 00021940
	s_nop 1                                                    // 00000000B1C0: BF800001
	v_max_f32_e32 v15, v48, v12                                // 00000000B1C4: 161E1930
	v_mul_f32_e32 v53, s64, v15                                // 00000000B1C8: 0A6A1E40
	v_fma_f32 v128, v128, s64, -v53                            // 00000000B1CC: D1CB0080 84D48180
	v_fma_f32 v129, v129, s64, -v53                            // 00000000B1D4: D1CB0081 84D48181
	v_fma_f32 v130, v130, s64, -v53                            // 00000000B1DC: D1CB0082 84D48182
	v_fma_f32 v131, v131, s64, -v53                            // 00000000B1E4: D1CB0083 84D48183
	v_fma_f32 v132, v132, s64, -v53                            // 00000000B1EC: D1CB0084 84D48184
	v_fma_f32 v133, v133, s64, -v53                            // 00000000B1F4: D1CB0085 84D48185
	v_fma_f32 v134, v134, s64, -v53                            // 00000000B1FC: D1CB0086 84D48186
	v_fma_f32 v135, v135, s64, -v53                            // 00000000B204: D1CB0087 84D48187
	v_fma_f32 v136, v136, s64, -v53                            // 00000000B20C: D1CB0088 84D48188
	v_fma_f32 v137, v137, s64, -v53                            // 00000000B214: D1CB0089 84D48189
	v_fma_f32 v138, v138, s64, -v53                            // 00000000B21C: D1CB008A 84D4818A
	v_fma_f32 v139, v139, s64, -v53                            // 00000000B224: D1CB008B 84D4818B
	v_fma_f32 v140, v140, s64, -v53                            // 00000000B22C: D1CB008C 84D4818C
	v_fma_f32 v141, v141, s64, -v53                            // 00000000B234: D1CB008D 84D4818D
	v_fma_f32 v142, v142, s64, -v53                            // 00000000B23C: D1CB008E 84D4818E
	v_fma_f32 v143, v143, s64, -v53                            // 00000000B244: D1CB008F 84D4818F
	v_exp_f32_e32 v128, v128                                   // 00000000B24C: 7F004180
	v_exp_f32_e32 v129, v129                                   // 00000000B250: 7F024181
	v_exp_f32_e32 v130, v130                                   // 00000000B254: 7F044182
	v_exp_f32_e32 v131, v131                                   // 00000000B258: 7F064183
	v_exp_f32_e32 v132, v132                                   // 00000000B25C: 7F084184
	v_exp_f32_e32 v133, v133                                   // 00000000B260: 7F0A4185
	v_exp_f32_e32 v134, v134                                   // 00000000B264: 7F0C4186
	v_exp_f32_e32 v135, v135                                   // 00000000B268: 7F0E4187
	v_exp_f32_e32 v136, v136                                   // 00000000B26C: 7F104188
	v_exp_f32_e32 v137, v137                                   // 00000000B270: 7F124189
	v_exp_f32_e32 v138, v138                                   // 00000000B274: 7F14418A
	v_exp_f32_e32 v139, v139                                   // 00000000B278: 7F16418B
	v_exp_f32_e32 v140, v140                                   // 00000000B27C: 7F18418C
	v_exp_f32_e32 v141, v141                                   // 00000000B280: 7F1A418D
	v_exp_f32_e32 v142, v142                                   // 00000000B284: 7F1C418E
	v_exp_f32_e32 v143, v143                                   // 00000000B288: 7F1E418F
	v_mul_f32_dpp v240, v252, v128 quad_perm:[0,0,0,0] row_mask:0xf bank_mask:0xf// 00000000B28C: 0BE100FA FF0000FC
	v_mul_f32_dpp v241, v252, v129 quad_perm:[1,1,1,1] row_mask:0xf bank_mask:0xf// 00000000B294: 0BE302FA FF0055FC
	v_mul_f32_dpp v242, v252, v130 quad_perm:[2,2,2,2] row_mask:0xf bank_mask:0xf// 00000000B29C: 0BE504FA FF00AAFC
	v_mul_f32_dpp v243, v252, v131 quad_perm:[3,3,3,3] row_mask:0xf bank_mask:0xf// 00000000B2A4: 0BE706FA FF00FFFC
	v_mul_f32_dpp v244, v253, v132 quad_perm:[0,0,0,0] row_mask:0xf bank_mask:0xf// 00000000B2AC: 0BE908FA FF0000FD
	v_mul_f32_dpp v245, v253, v133 quad_perm:[1,1,1,1] row_mask:0xf bank_mask:0xf// 00000000B2B4: 0BEB0AFA FF0055FD
	v_mul_f32_dpp v246, v253, v134 quad_perm:[2,2,2,2] row_mask:0xf bank_mask:0xf// 00000000B2BC: 0BED0CFA FF00AAFD
	v_mul_f32_dpp v247, v253, v135 quad_perm:[3,3,3,3] row_mask:0xf bank_mask:0xf// 00000000B2C4: 0BEF0EFA FF00FFFD
	v_mul_f32_dpp v248, v254, v136 quad_perm:[0,0,0,0] row_mask:0xf bank_mask:0xf// 00000000B2CC: 0BF110FA FF0000FE
	v_mul_f32_dpp v249, v254, v137 quad_perm:[1,1,1,1] row_mask:0xf bank_mask:0xf// 00000000B2D4: 0BF312FA FF0055FE
	v_mul_f32_dpp v250, v254, v138 quad_perm:[2,2,2,2] row_mask:0xf bank_mask:0xf// 00000000B2DC: 0BF514FA FF00AAFE
	v_mul_f32_dpp v251, v254, v139 quad_perm:[3,3,3,3] row_mask:0xf bank_mask:0xf// 00000000B2E4: 0BF716FA FF00FFFE
	v_mul_f32_dpp v252, v255, v140 quad_perm:[0,0,0,0] row_mask:0xf bank_mask:0xf// 00000000B2EC: 0BF918FA FF0000FF
	v_mul_f32_dpp v253, v255, v141 quad_perm:[1,1,1,1] row_mask:0xf bank_mask:0xf// 00000000B2F4: 0BFB1AFA FF0055FF
	v_mul_f32_dpp v254, v255, v142 quad_perm:[2,2,2,2] row_mask:0xf bank_mask:0xf// 00000000B2FC: 0BFD1CFA FF00AAFF
	v_mul_f32_dpp v255, v255, v143 quad_perm:[3,3,3,3] row_mask:0xf bank_mask:0xf// 00000000B304: 0BFF1EFA FF00FFFF
	v_mov_b32_e32 v48, 0x358637bd                              // 00000000B30C: 7E6002FF 358637BD
	v_max3_f32 v48, |v240|, |v241|, v48                        // 00000000B314: D1D30330 04C3E3F0
	v_max3_f32 v48, |v242|, |v243|, v48                        // 00000000B31C: D1D30330 04C3E7F2
	v_max3_f32 v48, |v244|, |v245|, v48                        // 00000000B324: D1D30330 04C3EBF4
	v_max3_f32 v48, |v246|, |v247|, v48                        // 00000000B32C: D1D30330 04C3EFF6
	v_max3_f32 v48, |v248|, |v249|, v48                        // 00000000B334: D1D30330 04C3F3F8
	v_max3_f32 v48, |v250|, |v251|, v48                        // 00000000B33C: D1D30330 04C3F7FA
	v_max3_f32 v48, |v252|, |v253|, v48                        // 00000000B344: D1D30330 04C3FBFC
	v_max3_f32 v48, |v254|, |v255|, v48                        // 00000000B34C: D1D30330 04C3FFFE
	ds_write_b32 v8, v48 offset:20992                          // 00000000B354: D81A5200 00003008
	v_sub_f32_e32 v50, v12, v15                                // 00000000B35C: 04641F0C
	v_cndmask_b32_e64 v50, v50, 0, s[40:41]                    // 00000000B360: D1000032 00A10132
	v_mov_b32_e32 v12, v15                                     // 00000000B368: 7E18030F
	v_mul_f32_e32 v50, s64, v50                                // 00000000B36C: 0A646440
	v_exp_f32_e32 v50, v50                                     // 00000000B370: 7E644132
	s_waitcnt lgkmcnt(0)                                       // 00000000B374: BF8CC07F
	s_barrier                                                  // 00000000B378: BF8A0000
	ds_read_b32 v64, v7 offset:20992                           // 00000000B37C: D86C5200 40000007
	ds_read_b32 v65, v7 offset:21056                           // 00000000B384: D86C5240 41000007
	ds_read_b32 v66, v7 offset:21120                           // 00000000B38C: D86C5280 42000007
	ds_read_b32 v67, v7 offset:21184                           // 00000000B394: D86C52C0 43000007
	ds_read_b32 v68, v7 offset:21248                           // 00000000B39C: D86C5300 44000007
	ds_read_b32 v69, v7 offset:21312                           // 00000000B3A4: D86C5340 45000007
	ds_read_b32 v70, v7 offset:21376                           // 00000000B3AC: D86C5380 46000007
	ds_read_b32 v71, v7 offset:21440                           // 00000000B3B4: D86C53C0 47000007
	ds_read_b32 v72, v7 offset:21504                           // 00000000B3BC: D86C5400 48000007
	ds_read_b32 v73, v7 offset:21568                           // 00000000B3C4: D86C5440 49000007
	ds_read_b32 v74, v7 offset:21632                           // 00000000B3CC: D86C5480 4A000007
	ds_read_b32 v75, v7 offset:21696                           // 00000000B3D4: D86C54C0 4B000007
	ds_read_b32 v76, v7 offset:21760                           // 00000000B3DC: D86C5500 4C000007
	ds_read_b32 v77, v7 offset:21824                           // 00000000B3E4: D86C5540 4D000007
	ds_read_b32 v78, v7 offset:21888                           // 00000000B3EC: D86C5580 4E000007
	ds_read_b32 v79, v7 offset:21952                           // 00000000B3F4: D86C55C0 4F000007
	v_mul_f32_e32 v39, v50, v39                                // 00000000B3FC: 0A4E4F32
	v_mov_b32_e32 v15, v128                                    // 00000000B400: 7E1E0380
	v_add_f32_e32 v15, v129, v15                               // 00000000B404: 021E1F81
	v_add_f32_e32 v15, v130, v15                               // 00000000B408: 021E1F82
	v_add_f32_e32 v15, v131, v15                               // 00000000B40C: 021E1F83
	v_add_f32_e32 v15, v132, v15                               // 00000000B410: 021E1F84
	v_add_f32_e32 v15, v133, v15                               // 00000000B414: 021E1F85
	v_add_f32_e32 v15, v134, v15                               // 00000000B418: 021E1F86
	v_add_f32_e32 v15, v135, v15                               // 00000000B41C: 021E1F87
	v_add_f32_e32 v15, v136, v15                               // 00000000B420: 021E1F88
	v_add_f32_e32 v15, v137, v15                               // 00000000B424: 021E1F89
	v_add_f32_e32 v15, v138, v15                               // 00000000B428: 021E1F8A
	v_add_f32_e32 v15, v139, v15                               // 00000000B42C: 021E1F8B
	v_add_f32_e32 v15, v140, v15                               // 00000000B430: 021E1F8C
	v_add_f32_e32 v15, v141, v15                               // 00000000B434: 021E1F8D
	v_add_f32_e32 v15, v142, v15                               // 00000000B438: 021E1F8E
	v_add_f32_e32 v15, v143, v15                               // 00000000B43C: 021E1F8F
	v_add_f32_e32 v39, v15, v39                                // 00000000B440: 024E4F0F
	s_waitcnt lgkmcnt(0)                                       // 00000000B444: BF8CC07F
	v_max3_f32 v48, |v64|, |v65|, v48                          // 00000000B448: D1D30330 04C28340
	v_max3_f32 v48, |v66|, |v67|, v48                          // 00000000B450: D1D30330 04C28742
	v_max3_f32 v48, |v68|, |v69|, v48                          // 00000000B458: D1D30330 04C28B44
	v_max3_f32 v48, |v70|, |v71|, v48                          // 00000000B460: D1D30330 04C28F46
	v_max3_f32 v48, |v72|, |v73|, v48                          // 00000000B468: D1D30330 04C29348
	v_max3_f32 v48, |v74|, |v75|, v48                          // 00000000B470: D1D30330 04C2974A
	v_max3_f32 v48, |v76|, |v77|, v48                          // 00000000B478: D1D30330 04C29B4C
	v_max3_f32 v48, |v78|, |v79|, v48                          // 00000000B480: D1D30330 04C29F4E
	s_nop 2                                                    // 00000000B488: BF800002
	v_rcp_f32_e32 v48, v48                                     // 00000000B48C: 7E604530
	s_nop 1                                                    // 00000000B490: BF800001
	v_mul_f32_e32 v48, 0x43700000, v48                         // 00000000B494: 0A6060FF 43700000
	v_mul_f32_e32 v128, v48, v240                              // 00000000B49C: 0B01E130
	v_mul_f32_e32 v129, v48, v241                              // 00000000B4A0: 0B03E330
	v_mul_f32_e32 v130, v48, v242                              // 00000000B4A4: 0B05E530
	v_mul_f32_e32 v131, v48, v243                              // 00000000B4A8: 0B07E730
	v_mul_f32_e32 v132, v48, v244                              // 00000000B4AC: 0B09E930
	v_mul_f32_e32 v133, v48, v245                              // 00000000B4B0: 0B0BEB30
	v_mul_f32_e32 v134, v48, v246                              // 00000000B4B4: 0B0DED30
	v_mul_f32_e32 v135, v48, v247                              // 00000000B4B8: 0B0FEF30
	v_mul_f32_e32 v136, v48, v248                              // 00000000B4BC: 0B11F130
	v_mul_f32_e32 v137, v48, v249                              // 00000000B4C0: 0B13F330
	v_mul_f32_e32 v138, v48, v250                              // 00000000B4C4: 0B15F530
	v_mul_f32_e32 v139, v48, v251                              // 00000000B4C8: 0B17F730
	v_mul_f32_e32 v140, v48, v252                              // 00000000B4CC: 0B19F930
	v_mul_f32_e32 v141, v48, v253                              // 00000000B4D0: 0B1BFB30
	v_mul_f32_e32 v142, v48, v254                              // 00000000B4D4: 0B1DFD30
	v_mul_f32_e32 v143, v48, v255                              // 00000000B4D8: 0B1FFF30
	v_cvt_pk_fp8_f32 v128, v128, v129                          // 00000000B4DC: D2A20080 00030380
	v_cvt_pk_fp8_f32 v128, v130, v131 op_sel:[0,0,1]           // 00000000B4E4: D2A24080 00030782
	v_cvt_pk_fp8_f32 v129, v132, v133                          // 00000000B4EC: D2A20081 00030B84
	v_cvt_pk_fp8_f32 v129, v134, v135 op_sel:[0,0,1]           // 00000000B4F4: D2A24081 00030F86
	v_cvt_pk_fp8_f32 v130, v136, v137                          // 00000000B4FC: D2A20082 00031388
	v_cvt_pk_fp8_f32 v130, v138, v139 op_sel:[0,0,1]           // 00000000B504: D2A24082 0003178A
	v_cvt_pk_fp8_f32 v131, v140, v141                          // 00000000B50C: D2A20083 00031B8C
	v_cvt_pk_fp8_f32 v131, v142, v143 op_sel:[0,0,1]           // 00000000B514: D2A24083 00031F8E
	ds_write_b32 v10, v128 offset:29184                        // 00000000B51C: D81A7200 0000800A
	ds_write_b32 v10, v129 offset:30208                        // 00000000B524: D81A7600 0000810A
	ds_write_b32 v10, v130 offset:31232                        // 00000000B52C: D81A7A00 0000820A
	ds_write_b32 v10, v131 offset:32256                        // 00000000B534: D81A7E00 0000830A
	v_add_f32_e32 v216, v216, v184                             // 00000000B53C: 03B171D8
	v_add_f32_e32 v217, v217, v185                             // 00000000B540: 03B373D9
	v_add_f32_e32 v218, v218, v186                             // 00000000B544: 03B575DA
	v_add_f32_e32 v219, v219, v187                             // 00000000B548: 03B777DB
	v_add_f32_e32 v220, v220, v188                             // 00000000B54C: 03B979DC
	v_add_f32_e32 v221, v221, v189                             // 00000000B550: 03BB7BDD
	v_add_f32_e32 v222, v222, v190                             // 00000000B554: 03BD7DDE
	v_add_f32_e32 v223, v223, v191                             // 00000000B558: 03BF7FDF
	v_rcp_f32_e32 v45, v48                                     // 00000000B55C: 7E5A4530
	s_waitcnt lgkmcnt(0)                                       // 00000000B560: BF8CC07F
	s_barrier                                                  // 00000000B564: BF8A0000
	ds_read_b64 v[128:129], v9 offset:29184                    // 00000000B568: D8EC7200 80000009
	ds_read_b64 v[130:131], v9 offset:29312                    // 00000000B570: D8EC7280 82000009
	ds_read_b64 v[132:133], v9 offset:30208                    // 00000000B578: D8EC7600 84000009
	ds_read_b64 v[134:135], v9 offset:30336                    // 00000000B580: D8EC7680 86000009
	ds_read_b64 v[136:137], v9 offset:31232                    // 00000000B588: D8EC7A00 88000009
	ds_read_b64 v[138:139], v9 offset:31360                    // 00000000B590: D8EC7A80 8A000009
	ds_read_b64 v[140:141], v9 offset:32256                    // 00000000B598: D8EC7E00 8C000009
	ds_read_b64 v[142:143], v9 offset:32384                    // 00000000B5A0: D8EC7E80 8E000009
	s_waitcnt vmcnt(15)                                        // 00000000B5A8: BF8C0F7F
	v_mfma_f32_16x16x32_fp8_fp8 v[176:179], a[64:65], v[112:113], 0// 00000000B5AC: D3F300B0 0A02E140
	buffer_load_dwordx4 a[112:115], v34, s[20:23], 0 offen offset:1024// 00000000B5B4: E05C1400 80857022
	v_mfma_f32_16x16x32_fp8_fp8 v[176:179], a[66:67], v[114:115], v[176:179]// 00000000B5BC: D3F300B0 0EC2E542
	v_mfma_f32_16x16x32_fp8_fp8 v[176:179], a[68:69], v[116:117], v[176:179]// 00000000B5C4: D3F300B0 0EC2E944
	v_mfma_f32_16x16x32_fp8_fp8 v[176:179], a[70:71], v[118:119], v[176:179]// 00000000B5CC: D3F300B0 0EC2ED46
	v_mfma_f32_16x16x32_fp8_fp8 v[176:179], a[72:73], v[120:121], v[176:179]// 00000000B5D4: D3F300B0 0EC2F148
	buffer_load_dwordx4 a[116:119], v35, s[20:23], 0 offen offset:1024// 00000000B5DC: E05C1400 80857423
	v_mfma_f32_16x16x32_fp8_fp8 v[176:179], a[74:75], v[122:123], v[176:179]// 00000000B5E4: D3F300B0 0EC2F54A
	v_mfma_f32_16x16x32_fp8_fp8 v[176:179], a[76:77], v[124:125], v[176:179]// 00000000B5EC: D3F300B0 0EC2F94C
	v_mfma_f32_16x16x32_fp8_fp8 v[176:179], a[78:79], v[126:127], v[176:179]// 00000000B5F4: D3F300B0 0EC2FD4E
	v_mfma_f32_16x16x32_fp8_fp8 v[180:183], a[80:81], v[112:113], 0// 00000000B5FC: D3F300B4 0A02E150
	buffer_load_dwordx4 a[120:123], v36, s[20:23], 0 offen offset:1024// 00000000B604: E05C1400 80857824
	v_mfma_f32_16x16x32_fp8_fp8 v[180:183], a[82:83], v[114:115], v[180:183]// 00000000B60C: D3F300B4 0ED2E552
	v_mfma_f32_16x16x32_fp8_fp8 v[180:183], a[84:85], v[116:117], v[180:183]// 00000000B614: D3F300B4 0ED2E954
	v_mfma_f32_16x16x32_fp8_fp8 v[180:183], a[86:87], v[118:119], v[180:183]// 00000000B61C: D3F300B4 0ED2ED56
	v_mfma_f32_16x16x32_fp8_fp8 v[180:183], a[88:89], v[120:121], v[180:183]// 00000000B624: D3F300B4 0ED2F158
	buffer_load_dwordx4 a[124:127], v37, s[20:23], 0 offen offset:1024// 00000000B62C: E05C1400 80857C25
	v_mfma_f32_16x16x32_fp8_fp8 v[180:183], a[90:91], v[122:123], v[180:183]// 00000000B634: D3F300B4 0ED2F55A
	v_mfma_f32_16x16x32_fp8_fp8 v[180:183], a[92:93], v[124:125], v[180:183]// 00000000B63C: D3F300B4 0ED2F95C
	s_lshr_b32 s57, s70, 4                                     // 00000000B644: 8F398446
	s_add_u32 s57, 48, s57                                     // 00000000B648: 803939B0
	v_mfma_f32_16x16x32_fp8_fp8 v[180:183], a[94:95], v[126:127], v[180:183]// 00000000B64C: D3F300B4 0ED2FD5E
	s_cmp_ge_u32 s57, s73                                      // 00000000B654: BF094939
	s_cselect_b32 s56, 0, s56                                  // 00000000B658: 85383880
	v_mfma_f32_16x16x32_fp8_fp8 v[184:187], a[64:65], v[128:129], 0// 00000000B65C: D3F300B8 0A030140
	v_mfma_f32_16x16x32_fp8_fp8 v[184:187], a[66:67], v[130:131], v[184:187]// 00000000B664: D3F300B8 0EE30542
	v_mfma_f32_16x16x32_fp8_fp8 v[184:187], a[68:69], v[132:133], v[184:187]// 00000000B66C: D3F300B8 0EE30944
	v_mfma_f32_16x16x32_fp8_fp8 v[184:187], a[70:71], v[134:135], v[184:187]// 00000000B674: D3F300B8 0EE30D46
	v_mfma_f32_16x16x32_fp8_fp8 v[184:187], a[72:73], v[136:137], v[184:187]// 00000000B67C: D3F300B8 0EE31148
	v_mfma_f32_16x16x32_fp8_fp8 v[184:187], a[74:75], v[138:139], v[184:187]// 00000000B684: D3F300B8 0EE3154A
	v_mfma_f32_16x16x32_fp8_fp8 v[184:187], a[76:77], v[140:141], v[184:187]// 00000000B68C: D3F300B8 0EE3194C
	v_mfma_f32_16x16x32_fp8_fp8 v[184:187], a[78:79], v[142:143], v[184:187]// 00000000B694: D3F300B8 0EE31D4E
	v_mfma_f32_16x16x32_fp8_fp8 v[188:191], a[80:81], v[128:129], 0// 00000000B69C: D3F300BC 0A030150
	v_mfma_f32_16x16x32_fp8_fp8 v[188:191], a[82:83], v[130:131], v[188:191]// 00000000B6A4: D3F300BC 0EF30552
	v_mfma_f32_16x16x32_fp8_fp8 v[188:191], a[84:85], v[132:133], v[188:191]// 00000000B6AC: D3F300BC 0EF30954
	v_mfma_f32_16x16x32_fp8_fp8 v[188:191], a[86:87], v[134:135], v[188:191]// 00000000B6B4: D3F300BC 0EF30D56
	v_mfma_f32_16x16x32_fp8_fp8 v[188:191], a[88:89], v[136:137], v[188:191]// 00000000B6BC: D3F300BC 0EF31158
	v_mfma_f32_16x16x32_fp8_fp8 v[188:191], a[90:91], v[138:139], v[188:191]// 00000000B6C4: D3F300BC 0EF3155A
	v_mfma_f32_16x16x32_fp8_fp8 v[188:191], a[92:93], v[140:141], v[188:191]// 00000000B6CC: D3F300BC 0EF3195C
	v_mfma_f32_16x16x32_fp8_fp8 v[188:191], a[94:95], v[142:143], v[188:191]// 00000000B6D4: D3F300BC 0EF31D5E
	v_add_u32_e32 v1, s56, v1                                  // 00000000B6DC: 68020238
	s_addk_i32 s70, 0x100                                      // 00000000B6E0: B7460100
	s_cmp_lt_i32 s70, s71                                      // 00000000B6E4: BF044746
	s_cbranch_scc0 label_2013                                  // 00000000B6E8: BF84FAD8
	s_waitcnt vmcnt(8) lgkmcnt(0)                              // 00000000B6EC: BF8C0078
	v_mul_u32_u24_dpp v64, v16, v54 row_newbcast:0 row_mask:0xf bank_mask:0xf// 00000000B6F0: 10806CFA FF015010
	v_mul_u32_u24_dpp v65, v16, v54 row_newbcast:4 row_mask:0xf bank_mask:0xf// 00000000B6F8: 10826CFA FF015410
	v_mul_u32_u24_dpp v66, v16, v54 row_newbcast:8 row_mask:0xf bank_mask:0xf// 00000000B700: 10846CFA FF015810
	v_mul_u32_u24_dpp v67, v16, v54 row_newbcast:12 row_mask:0xf bank_mask:0xf// 00000000B708: 10866CFA FF015C10
	v_add_u32_e32 v22, v64, v5                                 // 00000000B710: 682C0B40
	v_add_u32_e32 v23, v65, v5                                 // 00000000B714: 682E0B41
	v_add_u32_e32 v24, v66, v5                                 // 00000000B718: 68300B42
	v_add_u32_e32 v25, v67, v5                                 // 00000000B71C: 68320B43
	v_mul_u32_u24_dpp v64, v16, v63 quad_perm:[0,0,0,0] row_mask:0xf bank_mask:0xf// 00000000B720: 10807EFA FF000010
	v_add_u32_e32 v2, v64, v59                                 // 00000000B728: 68047740
	v_mul_u32_u24_dpp v64, v16, v63 quad_perm:[0,0,0,0] row_mask:0xf bank_mask:0xf// 00000000B72C: 10807EFA FF000010
	v_add_u32_e32 v55, v64, v60                                // 00000000B734: 686E7940
	v_mfma_f32_16x16x32_fp8_fp8 v[112:115], a[32:33], v[80:81], 0// 00000000B738: D3F30070 0A02A120
	buffer_load_dwordx4 a[0:3], v22, s[16:19], 0 offen         // 00000000B740: E05C1000 80840016
	v_mfma_f32_16x16x32_fp8_fp8 v[112:115], a[34:35], v[82:83], v[112:115]// 00000000B748: D3F30070 0DC2A522
	v_mfma_f32_16x16x32_fp8_fp8 v[112:115], a[36:37], v[84:85], v[112:115]// 00000000B750: D3F30070 0DC2A924
	buffer_load_dword v17, v1, s[24:27], 0 offen               // 00000000B758: E0501000 80061101
	v_mfma_f32_16x16x32_fp8_fp8 v[112:115], a[38:39], v[86:87], v[112:115]// 00000000B760: D3F30070 0DC2AD26
	v_mfma_f32_16x16x32_fp8_fp8 v[116:119], a[40:41], v[80:81], 0// 00000000B768: D3F30074 0A02A128
	buffer_load_dwordx4 a[4:7], v22, s[16:19], 0 offen offset:1024// 00000000B770: E05C1400 80840416
	v_mfma_f32_16x16x32_fp8_fp8 v[116:119], a[42:43], v[82:83], v[116:119]// 00000000B778: D3F30074 0DD2A52A
	v_mfma_f32_16x16x32_fp8_fp8 v[116:119], a[44:45], v[84:85], v[116:119]// 00000000B780: D3F30074 0DD2A92C
	v_mfma_f32_16x16x32_fp8_fp8 v[116:119], a[46:47], v[86:87], v[116:119]// 00000000B788: D3F30074 0DD2AD2E
	v_mfma_f32_16x16x32_fp8_fp8 v[120:123], a[48:49], v[80:81], 0// 00000000B790: D3F30078 0A02A130
	buffer_load_dwordx4 a[8:11], v23, s[16:19], 0 offen        // 00000000B798: E05C1000 80840817
	v_mfma_f32_16x16x32_fp8_fp8 v[120:123], a[50:51], v[82:83], v[120:123]// 00000000B7A0: D3F30078 0DE2A532
	v_mfma_f32_16x16x32_fp8_fp8 v[120:123], a[52:53], v[84:85], v[120:123]// 00000000B7A8: D3F30078 0DE2A934
	v_mfma_f32_16x16x32_fp8_fp8 v[120:123], a[54:55], v[86:87], v[120:123]// 00000000B7B0: D3F30078 0DE2AD36
	v_mfma_f32_16x16x32_fp8_fp8 v[124:127], a[56:57], v[80:81], 0// 00000000B7B8: D3F3007C 0A02A138
	buffer_load_dwordx4 a[12:15], v23, s[16:19], 0 offen offset:1024// 00000000B7C0: E05C1400 80840C17
	v_mfma_f32_16x16x32_fp8_fp8 v[124:127], a[58:59], v[82:83], v[124:127]// 00000000B7C8: D3F3007C 0DF2A53A
	v_mfma_f32_16x16x32_fp8_fp8 v[124:127], a[60:61], v[84:85], v[124:127]// 00000000B7D0: D3F3007C 0DF2A93C
	v_mfma_f32_16x16x32_fp8_fp8 v[124:127], a[62:63], v[86:87], v[124:127]// 00000000B7D8: D3F3007C 0DF2AD3E
	v_mfma_f32_16x16x32_fp8_fp8 v[128:131], a[32:33], v[88:89], 0// 00000000B7E0: D3F30080 0A02B120
	v_mfma_f32_16x16x32_fp8_fp8 v[128:131], a[34:35], v[90:91], v[128:131]// 00000000B7E8: D3F30080 0E02B522
	v_mfma_f32_16x16x32_fp8_fp8 v[128:131], a[36:37], v[92:93], v[128:131]// 00000000B7F0: D3F30080 0E02B924
	v_mfma_f32_16x16x32_fp8_fp8 v[128:131], a[38:39], v[94:95], v[128:131]// 00000000B7F8: D3F30080 0E02BD26
	v_mfma_f32_16x16x32_fp8_fp8 v[132:135], a[40:41], v[88:89], 0// 00000000B800: D3F30084 0A02B128
	v_mfma_f32_16x16x32_fp8_fp8 v[132:135], a[42:43], v[90:91], v[132:135]// 00000000B808: D3F30084 0E12B52A
	v_mfma_f32_16x16x32_fp8_fp8 v[132:135], a[44:45], v[92:93], v[132:135]// 00000000B810: D3F30084 0E12B92C
	v_mfma_f32_16x16x32_fp8_fp8 v[132:135], a[46:47], v[94:95], v[132:135]// 00000000B818: D3F30084 0E12BD2E
	v_mfma_f32_16x16x32_fp8_fp8 v[136:139], a[48:49], v[88:89], 0// 00000000B820: D3F30088 0A02B130
	v_mfma_f32_16x16x32_fp8_fp8 v[136:139], a[50:51], v[90:91], v[136:139]// 00000000B828: D3F30088 0E22B532
	v_mfma_f32_16x16x32_fp8_fp8 v[136:139], a[52:53], v[92:93], v[136:139]// 00000000B830: D3F30088 0E22B934
	v_mfma_f32_16x16x32_fp8_fp8 v[136:139], a[54:55], v[94:95], v[136:139]// 00000000B838: D3F30088 0E22BD36
	v_mfma_f32_16x16x32_fp8_fp8 v[140:143], a[56:57], v[88:89], 0// 00000000B840: D3F3008C 0A02B138
	v_mfma_f32_16x16x32_fp8_fp8 v[140:143], a[58:59], v[90:91], v[140:143]// 00000000B848: D3F3008C 0E32B53A
	v_mfma_f32_16x16x32_fp8_fp8 v[140:143], a[60:61], v[92:93], v[140:143]// 00000000B850: D3F3008C 0E32B93C
	v_mfma_f32_16x16x32_fp8_fp8 v[140:143], a[62:63], v[94:95], v[140:143]// 00000000B858: D3F3008C 0E32BD3E
	buffer_load_dword v42, v2, s[32:35], 0 offen               // 00000000B860: E0501000 80082A02
	v_mov_b32_dpp v64, v43 row_shr:4 row_mask:0xf bank_mask:0xf// 00000000B868: 7E8002FA FF01142B
	v_mov_b32_dpp v65, v43 row_shl:4 row_mask:0xf bank_mask:0xf// 00000000B870: 7E8202FA FF01042B
	v_cndmask_b32_e64 v248, v43, v64, s[44:45]                 // 00000000B878: D10000F8 00B2812B
	v_cndmask_b32_e64 v249, v65, v43, s[44:45]                 // 00000000B880: D10000F9 00B25741
	v_mov_b32_dpp v64, v248 row_shr:8 row_mask:0xf bank_mask:0xf// 00000000B888: 7E8002FA FF0118F8
	v_mov_b32_dpp v65, v248 row_shl:8 row_mask:0xf bank_mask:0xf// 00000000B890: 7E8202FA FF0108F8
	v_mov_b32_dpp v66, v249 row_shr:8 row_mask:0xf bank_mask:0xf// 00000000B898: 7E8402FA FF0118F9
	v_mov_b32_dpp v67, v249 row_shl:8 row_mask:0xf bank_mask:0xf// 00000000B8A0: 7E8602FA FF0108F9
	v_mov_b32_e32 v68, v248                                    // 00000000B8A8: 7E8803F8
	v_mov_b32_e32 v69, v249                                    // 00000000B8AC: 7E8A03F9
	v_cndmask_b32_e64 v248, v68, v64, s[42:43]                 // 00000000B8B0: D10000F8 00AA8144
	v_cndmask_b32_e64 v250, v68, v65, s[78:79]                 // 00000000B8B8: D10000FA 013A8344
	v_cndmask_b32_e64 v249, v69, v66, s[42:43]                 // 00000000B8C0: D10000F9 00AA8545
	v_cndmask_b32_e64 v251, v69, v67, s[78:79]                 // 00000000B8C8: D10000FB 013A8745
	v_mov_b32_dpp v64, v58 row_shr:4 row_mask:0xf bank_mask:0xf// 00000000B8D0: 7E8002FA FF01143A
	v_mov_b32_dpp v65, v58 row_shl:4 row_mask:0xf bank_mask:0xf// 00000000B8D8: 7E8202FA FF01043A
	v_cndmask_b32_e64 v252, v58, v64, s[44:45]                 // 00000000B8E0: D10000FC 00B2813A
	v_cndmask_b32_e64 v253, v65, v58, s[44:45]                 // 00000000B8E8: D10000FD 00B27541
	v_mov_b32_dpp v64, v252 row_shr:8 row_mask:0xf bank_mask:0xf// 00000000B8F0: 7E8002FA FF0118FC
	v_mov_b32_dpp v65, v252 row_shl:8 row_mask:0xf bank_mask:0xf// 00000000B8F8: 7E8202FA FF0108FC
	v_mov_b32_dpp v66, v253 row_shr:8 row_mask:0xf bank_mask:0xf// 00000000B900: 7E8402FA FF0118FD
	v_mov_b32_dpp v67, v253 row_shl:8 row_mask:0xf bank_mask:0xf// 00000000B908: 7E8602FA FF0108FD
	v_mov_b32_e32 v68, v252                                    // 00000000B910: 7E8803FC
	v_mov_b32_e32 v69, v253                                    // 00000000B914: 7E8A03FD
	v_cndmask_b32_e64 v252, v68, v64, s[42:43]                 // 00000000B918: D10000FC 00AA8144
	v_cndmask_b32_e64 v254, v68, v65, s[78:79]                 // 00000000B920: D10000FE 013A8344
	v_cndmask_b32_e64 v253, v69, v66, s[42:43]                 // 00000000B928: D10000FD 00AA8545
	v_cndmask_b32_e64 v255, v69, v67, s[78:79]                 // 00000000B930: D10000FF 013A8745
	buffer_load_dword v57, v55, s[36:39], 0 offen              // 00000000B938: E0501000 80093937
	v_mul_f32_e32 v112, v18, v112                              // 00000000B940: 0AE0E112
	v_mul_f32_e32 v113, v18, v113                              // 00000000B944: 0AE2E312
	v_mul_f32_e32 v114, v18, v114                              // 00000000B948: 0AE4E512
	v_mul_f32_e32 v115, v18, v115                              // 00000000B94C: 0AE6E712
	v_mul_f32_e32 v116, v18, v116                              // 00000000B950: 0AE8E912
	v_mul_f32_e32 v117, v18, v117                              // 00000000B954: 0AEAEB12
	v_mul_f32_e32 v118, v18, v118                              // 00000000B958: 0AECED12
	v_mul_f32_e32 v119, v18, v119                              // 00000000B95C: 0AEEEF12
	v_mul_f32_e32 v120, v18, v120                              // 00000000B960: 0AF0F112
	v_mul_f32_e32 v121, v18, v121                              // 00000000B964: 0AF2F312
	v_mul_f32_e32 v122, v18, v122                              // 00000000B968: 0AF4F512
	v_mul_f32_e32 v123, v18, v123                              // 00000000B96C: 0AF6F712
	v_mul_f32_e32 v124, v18, v124                              // 00000000B970: 0AF8F912
	v_mul_f32_e32 v125, v18, v125                              // 00000000B974: 0AFAFB12
	v_mul_f32_e32 v126, v18, v126                              // 00000000B978: 0AFCFD12
	v_mul_f32_e32 v127, v18, v127                              // 00000000B97C: 0AFEFF12
	buffer_load_dwordx4 a[16:19], v24, s[16:19], 0 offen       // 00000000B980: E05C1000 80841018
	v_mul_f32_dpp v112, v248, v112 quad_perm:[0,0,0,0] row_mask:0xf bank_mask:0xf// 00000000B988: 0AE0E0FA FF0000F8
	v_mul_f32_dpp v113, v248, v113 quad_perm:[1,1,1,1] row_mask:0xf bank_mask:0xf// 00000000B990: 0AE2E2FA FF0055F8
	v_mul_f32_dpp v114, v248, v114 quad_perm:[2,2,2,2] row_mask:0xf bank_mask:0xf// 00000000B998: 0AE4E4FA FF00AAF8
	v_mul_f32_dpp v115, v248, v115 quad_perm:[3,3,3,3] row_mask:0xf bank_mask:0xf// 00000000B9A0: 0AE6E6FA FF00FFF8
	v_mul_f32_dpp v116, v249, v116 quad_perm:[0,0,0,0] row_mask:0xf bank_mask:0xf// 00000000B9A8: 0AE8E8FA FF0000F9
	v_mul_f32_dpp v117, v249, v117 quad_perm:[1,1,1,1] row_mask:0xf bank_mask:0xf// 00000000B9B0: 0AEAEAFA FF0055F9
	v_mul_f32_dpp v118, v249, v118 quad_perm:[2,2,2,2] row_mask:0xf bank_mask:0xf// 00000000B9B8: 0AECECFA FF00AAF9
	v_mul_f32_dpp v119, v249, v119 quad_perm:[3,3,3,3] row_mask:0xf bank_mask:0xf// 00000000B9C0: 0AEEEEFA FF00FFF9
	v_mul_f32_dpp v120, v250, v120 quad_perm:[0,0,0,0] row_mask:0xf bank_mask:0xf// 00000000B9C8: 0AF0F0FA FF0000FA
	v_mul_f32_dpp v121, v250, v121 quad_perm:[1,1,1,1] row_mask:0xf bank_mask:0xf// 00000000B9D0: 0AF2F2FA FF0055FA
	v_mul_f32_dpp v122, v250, v122 quad_perm:[2,2,2,2] row_mask:0xf bank_mask:0xf// 00000000B9D8: 0AF4F4FA FF00AAFA
	v_mul_f32_dpp v123, v250, v123 quad_perm:[3,3,3,3] row_mask:0xf bank_mask:0xf// 00000000B9E0: 0AF6F6FA FF00FFFA
	v_mul_f32_dpp v124, v251, v124 quad_perm:[0,0,0,0] row_mask:0xf bank_mask:0xf// 00000000B9E8: 0AF8F8FA FF0000FB
	v_mul_f32_dpp v125, v251, v125 quad_perm:[1,1,1,1] row_mask:0xf bank_mask:0xf// 00000000B9F0: 0AFAFAFA FF0055FB
	v_mul_f32_dpp v126, v251, v126 quad_perm:[2,2,2,2] row_mask:0xf bank_mask:0xf// 00000000B9F8: 0AFCFCFA FF00AAFB
	v_mul_f32_dpp v127, v251, v127 quad_perm:[3,3,3,3] row_mask:0xf bank_mask:0xf// 00000000BA00: 0AFEFEFA FF00FFFB
	buffer_load_dwordx4 a[20:23], v24, s[16:19], 0 offen offset:1024// 00000000BA08: E05C1400 80841418
	s_cmp_le_i32 s90, s89                                      // 00000000BA10: BF05595A
	s_cbranch_scc1 label_2677                                  // 00000000BA14: BF850071
	v_mov_b32_e32 v66, 0xff800000                              // 00000000BA18: 7E8402FF FF800000
	s_mov_b32 s60, s90                                         // 00000000BA20: BEBC005A
	s_add_u32 s61, s89, 0xff                                   // 00000000BA24: 803DFF59 000000FF
	v_mov_b32_e32 v64, s61                                     // 00000000BA2C: 7E80023D
	v_lshrrev_b32_e32 v240, 4, v0                              // 00000000BA30: 21E00084
	v_mul_i32_i24_e32 v240, 4, v240                            // 00000000BA34: 0DE1E084
	v_add_u32_e32 v240, s60, v240                              // 00000000BA38: 69E1E03C
	s_mov_b32 s61, 0                                           // 00000000BA3C: BEBD0080
	s_mul_i32 s60, 16, s7                                      // 00000000BA40: 923C0790
	v_sub_u32_e64 v240, v240, s61                              // 00000000BA44: D13500F0 00007BF0
	v_add_u32_e32 v240, s60, v240                              // 00000000BA4C: 69E1E03C
	v_add_u32_e32 v241, 1, v240                                // 00000000BA50: 69E3E081
	v_add_u32_e32 v242, 2, v240                                // 00000000BA54: 69E5E082
	v_add_u32_e32 v243, 3, v240                                // 00000000BA58: 69E7E083
	v_cmp_le_u32_e64 s[40:41], v240, v64                       // 00000000BA5C: D0CB0028 000281F0
	v_add_u32_e32 v240, 64, v240                               // 00000000BA64: 69E1E0C0
	s_nop 0                                                    // 00000000BA68: BF800000
	v_cndmask_b32_e64 v112, v66, v112, s[40:41]                // 00000000BA6C: D1000070 00A2E142
	v_cmp_le_u32_e64 s[40:41], v241, v64                       // 00000000BA74: D0CB0028 000281F1
	v_add_u32_e32 v241, 64, v241                               // 00000000BA7C: 69E3E2C0
	s_nop 0                                                    // 00000000BA80: BF800000
	v_cndmask_b32_e64 v113, v66, v113, s[40:41]                // 00000000BA84: D1000071 00A2E342
	v_cmp_le_u32_e64 s[40:41], v242, v64                       // 00000000BA8C: D0CB0028 000281F2
	v_add_u32_e32 v242, 64, v242                               // 00000000BA94: 69E5E4C0
	s_nop 0                                                    // 00000000BA98: BF800000
	v_cndmask_b32_e64 v114, v66, v114, s[40:41]                // 00000000BA9C: D1000072 00A2E542
	v_cmp_le_u32_e64 s[40:41], v243, v64                       // 00000000BAA4: D0CB0028 000281F3
	v_add_u32_e32 v243, 64, v243                               // 00000000BAAC: 69E7E6C0
	s_nop 0                                                    // 00000000BAB0: BF800000
	v_cndmask_b32_e64 v115, v66, v115, s[40:41]                // 00000000BAB4: D1000073 00A2E742
	v_cmp_le_u32_e64 s[40:41], v240, v64                       // 00000000BABC: D0CB0028 000281F0
	v_add_u32_e32 v240, 64, v240                               // 00000000BAC4: 69E1E0C0
	s_nop 0                                                    // 00000000BAC8: BF800000
	v_cndmask_b32_e64 v116, v66, v116, s[40:41]                // 00000000BACC: D1000074 00A2E942
	v_cmp_le_u32_e64 s[40:41], v241, v64                       // 00000000BAD4: D0CB0028 000281F1
	v_add_u32_e32 v241, 64, v241                               // 00000000BADC: 69E3E2C0
	s_nop 0                                                    // 00000000BAE0: BF800000
	v_cndmask_b32_e64 v117, v66, v117, s[40:41]                // 00000000BAE4: D1000075 00A2EB42
	v_cmp_le_u32_e64 s[40:41], v242, v64                       // 00000000BAEC: D0CB0028 000281F2
	v_add_u32_e32 v242, 64, v242                               // 00000000BAF4: 69E5E4C0
	s_nop 0                                                    // 00000000BAF8: BF800000
	v_cndmask_b32_e64 v118, v66, v118, s[40:41]                // 00000000BAFC: D1000076 00A2ED42
	v_cmp_le_u32_e64 s[40:41], v243, v64                       // 00000000BB04: D0CB0028 000281F3
	v_add_u32_e32 v243, 64, v243                               // 00000000BB0C: 69E7E6C0
	s_nop 0                                                    // 00000000BB10: BF800000
	v_cndmask_b32_e64 v119, v66, v119, s[40:41]                // 00000000BB14: D1000077 00A2EF42
	v_cmp_le_u32_e64 s[40:41], v240, v64                       // 00000000BB1C: D0CB0028 000281F0
	v_add_u32_e32 v240, 64, v240                               // 00000000BB24: 69E1E0C0
	s_nop 0                                                    // 00000000BB28: BF800000
	v_cndmask_b32_e64 v120, v66, v120, s[40:41]                // 00000000BB2C: D1000078 00A2F142
	v_cmp_le_u32_e64 s[40:41], v241, v64                       // 00000000BB34: D0CB0028 000281F1
	v_add_u32_e32 v241, 64, v241                               // 00000000BB3C: 69E3E2C0
	s_nop 0                                                    // 00000000BB40: BF800000
	v_cndmask_b32_e64 v121, v66, v121, s[40:41]                // 00000000BB44: D1000079 00A2F342
	v_cmp_le_u32_e64 s[40:41], v242, v64                       // 00000000BB4C: D0CB0028 000281F2
	v_add_u32_e32 v242, 64, v242                               // 00000000BB54: 69E5E4C0
	s_nop 0                                                    // 00000000BB58: BF800000
	v_cndmask_b32_e64 v122, v66, v122, s[40:41]                // 00000000BB5C: D100007A 00A2F542
	v_cmp_le_u32_e64 s[40:41], v243, v64                       // 00000000BB64: D0CB0028 000281F3
	v_add_u32_e32 v243, 64, v243                               // 00000000BB6C: 69E7E6C0
	s_nop 0                                                    // 00000000BB70: BF800000
	v_cndmask_b32_e64 v123, v66, v123, s[40:41]                // 00000000BB74: D100007B 00A2F742
	v_cmp_le_u32_e64 s[40:41], v240, v64                       // 00000000BB7C: D0CB0028 000281F0
	v_add_u32_e32 v240, 64, v240                               // 00000000BB84: 69E1E0C0
	s_nop 0                                                    // 00000000BB88: BF800000
	v_cndmask_b32_e64 v124, v66, v124, s[40:41]                // 00000000BB8C: D100007C 00A2F942
	v_cmp_le_u32_e64 s[40:41], v241, v64                       // 00000000BB94: D0CB0028 000281F1
	v_add_u32_e32 v241, 64, v241                               // 00000000BB9C: 69E3E2C0
	s_nop 0                                                    // 00000000BBA0: BF800000
	v_cndmask_b32_e64 v125, v66, v125, s[40:41]                // 00000000BBA4: D100007D 00A2FB42
	v_cmp_le_u32_e64 s[40:41], v242, v64                       // 00000000BBAC: D0CB0028 000281F2
	v_add_u32_e32 v242, 64, v242                               // 00000000BBB4: 69E5E4C0
	s_nop 0                                                    // 00000000BBB8: BF800000
	v_cndmask_b32_e64 v126, v66, v126, s[40:41]                // 00000000BBBC: D100007E 00A2FD42
	v_cmp_le_u32_e64 s[40:41], v243, v64                       // 00000000BBC4: D0CB0028 000281F3
	v_add_u32_e32 v243, 64, v243                               // 00000000BBCC: 69E7E6C0
	s_nop 0                                                    // 00000000BBD0: BF800000
	v_cndmask_b32_e64 v127, v66, v127, s[40:41]                // 00000000BBD4: D100007F 00A2FF42

000000000000bbdc <label_2677>:
	v_mov_b32_e32 v48, v112                                    // 00000000BBDC: 7E600370
	v_max3_f32 v48, v112, v113, v48                            // 00000000BBE0: D1D30030 04C2E370
	v_max3_f32 v48, v114, v115, v48                            // 00000000BBE8: D1D30030 04C2E772
	v_max3_f32 v48, v116, v117, v48                            // 00000000BBF0: D1D30030 04C2EB74
	v_max3_f32 v48, v118, v119, v48                            // 00000000BBF8: D1D30030 04C2EF76
	v_max3_f32 v48, v120, v121, v48                            // 00000000BC00: D1D30030 04C2F378
	v_max3_f32 v48, v122, v123, v48                            // 00000000BC08: D1D30030 04C2F77A
	v_max3_f32 v48, v124, v125, v48                            // 00000000BC10: D1D30030 04C2FB7C
	v_max3_f32 v48, v126, v127, v48                            // 00000000BC18: D1D30030 04C2FF7E
	ds_write_b32 v8, v48 offset:16896                          // 00000000BC20: D81A4200 00003008
	buffer_load_dwordx4 a[24:27], v25, s[16:19], 0 offen       // 00000000BC28: E05C1000 80841819
	v_mul_u32_u24_dpp v64, v16, v54 row_newbcast:1 row_mask:0xf bank_mask:0xf// 00000000BC30: 10806CFA FF015110
	v_mul_u32_u24_dpp v65, v16, v54 row_newbcast:5 row_mask:0xf bank_mask:0xf// 00000000BC38: 10826CFA FF015510
	v_mul_u32_u24_dpp v66, v16, v54 row_newbcast:9 row_mask:0xf bank_mask:0xf// 00000000BC40: 10846CFA FF015910
	v_mul_u32_u24_dpp v67, v16, v54 row_newbcast:13 row_mask:0xf bank_mask:0xf// 00000000BC48: 10866CFA FF015D10
	v_add_u32_e32 v30, v64, v6                                 // 00000000BC50: 683C0D40
	v_add_u32_e32 v31, v65, v6                                 // 00000000BC54: 683E0D41
	v_add_u32_e32 v32, v66, v6                                 // 00000000BC58: 68400D42
	v_add_u32_e32 v33, v67, v6                                 // 00000000BC5C: 68420D43
	v_mul_f32_e32 v208, v49, v208                              // 00000000BC60: 0BA1A131
	v_mul_f32_e32 v209, v49, v209                              // 00000000BC64: 0BA3A331
	v_mul_f32_e32 v210, v49, v210                              // 00000000BC68: 0BA5A531
	v_mul_f32_e32 v211, v49, v211                              // 00000000BC6C: 0BA7A731
	v_mul_f32_e32 v212, v49, v212                              // 00000000BC70: 0BA9A931
	v_mul_f32_e32 v213, v49, v213                              // 00000000BC74: 0BABAB31
	v_mul_f32_e32 v214, v49, v214                              // 00000000BC78: 0BADAD31
	v_mul_f32_e32 v215, v49, v215                              // 00000000BC7C: 0BAFAF31
	s_waitcnt lgkmcnt(0)                                       // 00000000BC80: BF8CC07F
	s_barrier                                                  // 00000000BC84: BF8A0000
	ds_read_b32 v64, v7 offset:16896                           // 00000000BC88: D86C4200 40000007
	ds_read_b32 v65, v7 offset:16960                           // 00000000BC90: D86C4240 41000007
	ds_read_b32 v66, v7 offset:17024                           // 00000000BC98: D86C4280 42000007
	ds_read_b32 v67, v7 offset:17088                           // 00000000BCA0: D86C42C0 43000007
	ds_read_b32 v68, v7 offset:17152                           // 00000000BCA8: D86C4300 44000007
	ds_read_b32 v69, v7 offset:17216                           // 00000000BCB0: D86C4340 45000007
	ds_read_b32 v70, v7 offset:17280                           // 00000000BCB8: D86C4380 46000007
	ds_read_b32 v71, v7 offset:17344                           // 00000000BCC0: D86C43C0 47000007
	ds_read_b32 v72, v7 offset:17408                           // 00000000BCC8: D86C4400 48000007
	ds_read_b32 v73, v7 offset:17472                           // 00000000BCD0: D86C4440 49000007
	ds_read_b32 v74, v7 offset:17536                           // 00000000BCD8: D86C4480 4A000007
	ds_read_b32 v75, v7 offset:17600                           // 00000000BCE0: D86C44C0 4B000007
	ds_read_b32 v76, v7 offset:17664                           // 00000000BCE8: D86C4500 4C000007
	ds_read_b32 v77, v7 offset:17728                           // 00000000BCF0: D86C4540 4D000007
	ds_read_b32 v78, v7 offset:17792                           // 00000000BCF8: D86C4580 4E000007
	ds_read_b32 v79, v7 offset:17856                           // 00000000BD00: D86C45C0 4F000007
	buffer_load_dwordx4 a[28:31], v25, s[16:19], 0 offen offset:1024// 00000000BD08: E05C1400 80841C19
	v_mul_f32_e32 v176, v44, v176                              // 00000000BD10: 0B61612C
	v_mul_f32_e32 v177, v44, v177                              // 00000000BD14: 0B63632C
	v_mul_f32_e32 v178, v44, v178                              // 00000000BD18: 0B65652C
	v_mul_f32_e32 v179, v44, v179                              // 00000000BD1C: 0B67672C
	v_mul_f32_e32 v180, v44, v180                              // 00000000BD20: 0B69692C
	v_mul_f32_e32 v181, v44, v181                              // 00000000BD24: 0B6B6B2C
	v_mul_f32_e32 v182, v44, v182                              // 00000000BD28: 0B6D6D2C
	v_mul_f32_e32 v183, v44, v183                              // 00000000BD2C: 0B6F6F2C
	s_waitcnt lgkmcnt(0)                                       // 00000000BD30: BF8CC07F
	v_max3_f32 v48, v64, v65, v48                              // 00000000BD34: D1D30030 04C28340
	v_max3_f32 v48, v66, v67, v48                              // 00000000BD3C: D1D30030 04C28742
	v_max3_f32 v48, v68, v69, v48                              // 00000000BD44: D1D30030 04C28B44
	v_max3_f32 v48, v70, v71, v48                              // 00000000BD4C: D1D30030 04C28F46
	v_max3_f32 v48, v72, v73, v48                              // 00000000BD54: D1D30030 04C29348
	v_max3_f32 v48, v74, v75, v48                              // 00000000BD5C: D1D30030 04C2974A
	v_max3_f32 v48, v76, v77, v48                              // 00000000BD64: D1D30030 04C29B4C
	v_max3_f32 v48, v78, v79, v48                              // 00000000BD6C: D1D30030 04C29F4E
	buffer_load_dwordx4 a[64:67], v30, s[20:23], 0 offen       // 00000000BD74: E05C1000 8085401E
	v_mov_b32_e32 v64, 0xff800000                              // 00000000BD7C: 7E8002FF FF800000
	v_cmp_eq_u32_e64 s[40:41], v64, v11                        // 00000000BD84: D0CA0028 00021740
	s_nop 1                                                    // 00000000BD8C: BF800001
	v_max_f32_e32 v15, v48, v11                                // 00000000BD90: 161E1730
	v_mul_f32_e32 v53, s64, v15                                // 00000000BD94: 0A6A1E40
	v_fma_f32 v112, v112, s64, -v53                            // 00000000BD98: D1CB0070 84D48170
	v_fma_f32 v113, v113, s64, -v53                            // 00000000BDA0: D1CB0071 84D48171
	v_fma_f32 v114, v114, s64, -v53                            // 00000000BDA8: D1CB0072 84D48172
	v_fma_f32 v115, v115, s64, -v53                            // 00000000BDB0: D1CB0073 84D48173
	v_fma_f32 v116, v116, s64, -v53                            // 00000000BDB8: D1CB0074 84D48174
	v_fma_f32 v117, v117, s64, -v53                            // 00000000BDC0: D1CB0075 84D48175
	v_fma_f32 v118, v118, s64, -v53                            // 00000000BDC8: D1CB0076 84D48176
	v_fma_f32 v119, v119, s64, -v53                            // 00000000BDD0: D1CB0077 84D48177
	v_fma_f32 v120, v120, s64, -v53                            // 00000000BDD8: D1CB0078 84D48178
	v_fma_f32 v121, v121, s64, -v53                            // 00000000BDE0: D1CB0079 84D48179
	v_fma_f32 v122, v122, s64, -v53                            // 00000000BDE8: D1CB007A 84D4817A
	v_fma_f32 v123, v123, s64, -v53                            // 00000000BDF0: D1CB007B 84D4817B
	v_fma_f32 v124, v124, s64, -v53                            // 00000000BDF8: D1CB007C 84D4817C
	v_fma_f32 v125, v125, s64, -v53                            // 00000000BE00: D1CB007D 84D4817D
	v_fma_f32 v126, v126, s64, -v53                            // 00000000BE08: D1CB007E 84D4817E
	v_fma_f32 v127, v127, s64, -v53                            // 00000000BE10: D1CB007F 84D4817F
	buffer_load_dwordx4 a[68:71], v31, s[20:23], 0 offen       // 00000000BE18: E05C1000 8085441F
	v_exp_f32_e32 v112, v112                                   // 00000000BE20: 7EE04170
	v_exp_f32_e32 v113, v113                                   // 00000000BE24: 7EE24171
	v_exp_f32_e32 v114, v114                                   // 00000000BE28: 7EE44172
	v_exp_f32_e32 v115, v115                                   // 00000000BE2C: 7EE64173
	v_exp_f32_e32 v116, v116                                   // 00000000BE30: 7EE84174
	v_exp_f32_e32 v117, v117                                   // 00000000BE34: 7EEA4175
	v_exp_f32_e32 v118, v118                                   // 00000000BE38: 7EEC4176
	v_exp_f32_e32 v119, v119                                   // 00000000BE3C: 7EEE4177
	v_exp_f32_e32 v120, v120                                   // 00000000BE40: 7EF04178
	v_exp_f32_e32 v121, v121                                   // 00000000BE44: 7EF24179
	v_exp_f32_e32 v122, v122                                   // 00000000BE48: 7EF4417A
	v_exp_f32_e32 v123, v123                                   // 00000000BE4C: 7EF6417B
	v_exp_f32_e32 v124, v124                                   // 00000000BE50: 7EF8417C
	v_exp_f32_e32 v125, v125                                   // 00000000BE54: 7EFA417D
	v_exp_f32_e32 v126, v126                                   // 00000000BE58: 7EFC417E
	v_exp_f32_e32 v127, v127                                   // 00000000BE5C: 7EFE417F
	buffer_load_dwordx4 a[72:75], v32, s[20:23], 0 offen       // 00000000BE60: E05C1000 80854820
	v_mul_f32_dpp v240, v252, v112 quad_perm:[0,0,0,0] row_mask:0xf bank_mask:0xf// 00000000BE68: 0BE0E0FA FF0000FC
	v_mul_f32_dpp v241, v252, v113 quad_perm:[1,1,1,1] row_mask:0xf bank_mask:0xf// 00000000BE70: 0BE2E2FA FF0055FC
	v_mul_f32_dpp v242, v252, v114 quad_perm:[2,2,2,2] row_mask:0xf bank_mask:0xf// 00000000BE78: 0BE4E4FA FF00AAFC
	v_mul_f32_dpp v243, v252, v115 quad_perm:[3,3,3,3] row_mask:0xf bank_mask:0xf// 00000000BE80: 0BE6E6FA FF00FFFC
	v_mul_f32_dpp v244, v253, v116 quad_perm:[0,0,0,0] row_mask:0xf bank_mask:0xf// 00000000BE88: 0BE8E8FA FF0000FD
	v_mul_f32_dpp v245, v253, v117 quad_perm:[1,1,1,1] row_mask:0xf bank_mask:0xf// 00000000BE90: 0BEAEAFA FF0055FD
	v_mul_f32_dpp v246, v253, v118 quad_perm:[2,2,2,2] row_mask:0xf bank_mask:0xf// 00000000BE98: 0BECECFA FF00AAFD
	v_mul_f32_dpp v247, v253, v119 quad_perm:[3,3,3,3] row_mask:0xf bank_mask:0xf// 00000000BEA0: 0BEEEEFA FF00FFFD
	v_mul_f32_dpp v248, v254, v120 quad_perm:[0,0,0,0] row_mask:0xf bank_mask:0xf// 00000000BEA8: 0BF0F0FA FF0000FE
	v_mul_f32_dpp v249, v254, v121 quad_perm:[1,1,1,1] row_mask:0xf bank_mask:0xf// 00000000BEB0: 0BF2F2FA FF0055FE
	v_mul_f32_dpp v250, v254, v122 quad_perm:[2,2,2,2] row_mask:0xf bank_mask:0xf// 00000000BEB8: 0BF4F4FA FF00AAFE
	v_mul_f32_dpp v251, v254, v123 quad_perm:[3,3,3,3] row_mask:0xf bank_mask:0xf// 00000000BEC0: 0BF6F6FA FF00FFFE
	v_mul_f32_dpp v252, v255, v124 quad_perm:[0,0,0,0] row_mask:0xf bank_mask:0xf// 00000000BEC8: 0BF8F8FA FF0000FF
	v_mul_f32_dpp v253, v255, v125 quad_perm:[1,1,1,1] row_mask:0xf bank_mask:0xf// 00000000BED0: 0BFAFAFA FF0055FF
	v_mul_f32_dpp v254, v255, v126 quad_perm:[2,2,2,2] row_mask:0xf bank_mask:0xf// 00000000BED8: 0BFCFCFA FF00AAFF
	v_mul_f32_dpp v255, v255, v127 quad_perm:[3,3,3,3] row_mask:0xf bank_mask:0xf// 00000000BEE0: 0BFEFEFA FF00FFFF
	v_mov_b32_e32 v48, 0x358637bd                              // 00000000BEE8: 7E6002FF 358637BD
	v_max3_f32 v48, |v240|, |v241|, v48                        // 00000000BEF0: D1D30330 04C3E3F0
	v_max3_f32 v48, |v242|, |v243|, v48                        // 00000000BEF8: D1D30330 04C3E7F2
	v_max3_f32 v48, |v244|, |v245|, v48                        // 00000000BF00: D1D30330 04C3EBF4
	v_max3_f32 v48, |v246|, |v247|, v48                        // 00000000BF08: D1D30330 04C3EFF6
	v_max3_f32 v48, |v248|, |v249|, v48                        // 00000000BF10: D1D30330 04C3F3F8
	v_max3_f32 v48, |v250|, |v251|, v48                        // 00000000BF18: D1D30330 04C3F7FA
	v_max3_f32 v48, |v252|, |v253|, v48                        // 00000000BF20: D1D30330 04C3FBFC
	v_max3_f32 v48, |v254|, |v255|, v48                        // 00000000BF28: D1D30330 04C3FFFE
	buffer_load_dwordx4 a[76:79], v33, s[20:23], 0 offen       // 00000000BF30: E05C1000 80854C21
	ds_write_b32 v8, v48 offset:20992                          // 00000000BF38: D81A5200 00003008
	v_sub_f32_e32 v49, v11, v15                                // 00000000BF40: 04621F0B
	v_cndmask_b32_e64 v49, v49, 0, s[40:41]                    // 00000000BF44: D1000031 00A10131
	v_mov_b32_e32 v11, v15                                     // 00000000BF4C: 7E16030F
	v_mul_f32_e32 v49, s64, v49                                // 00000000BF50: 0A626240
	v_exp_f32_e32 v49, v49                                     // 00000000BF54: 7E624131
	s_waitcnt lgkmcnt(0)                                       // 00000000BF58: BF8CC07F
	s_barrier                                                  // 00000000BF5C: BF8A0000
	ds_read_b32 v64, v7 offset:20992                           // 00000000BF60: D86C5200 40000007
	ds_read_b32 v65, v7 offset:21056                           // 00000000BF68: D86C5240 41000007
	ds_read_b32 v66, v7 offset:21120                           // 00000000BF70: D86C5280 42000007
	ds_read_b32 v67, v7 offset:21184                           // 00000000BF78: D86C52C0 43000007
	ds_read_b32 v68, v7 offset:21248                           // 00000000BF80: D86C5300 44000007
	ds_read_b32 v69, v7 offset:21312                           // 00000000BF88: D86C5340 45000007
	ds_read_b32 v70, v7 offset:21376                           // 00000000BF90: D86C5380 46000007
	ds_read_b32 v71, v7 offset:21440                           // 00000000BF98: D86C53C0 47000007
	ds_read_b32 v72, v7 offset:21504                           // 00000000BFA0: D86C5400 48000007
	ds_read_b32 v73, v7 offset:21568                           // 00000000BFA8: D86C5440 49000007
	ds_read_b32 v74, v7 offset:21632                           // 00000000BFB0: D86C5480 4A000007
	ds_read_b32 v75, v7 offset:21696                           // 00000000BFB8: D86C54C0 4B000007
	ds_read_b32 v76, v7 offset:21760                           // 00000000BFC0: D86C5500 4C000007
	ds_read_b32 v77, v7 offset:21824                           // 00000000BFC8: D86C5540 4D000007
	ds_read_b32 v78, v7 offset:21888                           // 00000000BFD0: D86C5580 4E000007
	ds_read_b32 v79, v7 offset:21952                           // 00000000BFD8: D86C55C0 4F000007
	v_mul_f32_e32 v38, v49, v38                                // 00000000BFE0: 0A4C4D31
	v_mov_b32_e32 v15, v112                                    // 00000000BFE4: 7E1E0370
	v_add_f32_e32 v15, v113, v15                               // 00000000BFE8: 021E1F71
	v_add_f32_e32 v15, v114, v15                               // 00000000BFEC: 021E1F72
	v_add_f32_e32 v15, v115, v15                               // 00000000BFF0: 021E1F73
	v_add_f32_e32 v15, v116, v15                               // 00000000BFF4: 021E1F74
	v_add_f32_e32 v15, v117, v15                               // 00000000BFF8: 021E1F75
	v_add_f32_e32 v15, v118, v15                               // 00000000BFFC: 021E1F76
	v_add_f32_e32 v15, v119, v15                               // 00000000C000: 021E1F77
	v_add_f32_e32 v15, v120, v15                               // 00000000C004: 021E1F78
	v_add_f32_e32 v15, v121, v15                               // 00000000C008: 021E1F79
	v_add_f32_e32 v15, v122, v15                               // 00000000C00C: 021E1F7A
	v_add_f32_e32 v15, v123, v15                               // 00000000C010: 021E1F7B
	v_add_f32_e32 v15, v124, v15                               // 00000000C014: 021E1F7C
	v_add_f32_e32 v15, v125, v15                               // 00000000C018: 021E1F7D
	v_add_f32_e32 v15, v126, v15                               // 00000000C01C: 021E1F7E
	v_add_f32_e32 v15, v127, v15                               // 00000000C020: 021E1F7F
	v_add_f32_e32 v38, v15, v38                                // 00000000C024: 024C4D0F
	s_waitcnt lgkmcnt(0)                                       // 00000000C028: BF8CC07F
	v_max3_f32 v48, |v64|, |v65|, v48                          // 00000000C02C: D1D30330 04C28340
	v_max3_f32 v48, |v66|, |v67|, v48                          // 00000000C034: D1D30330 04C28742
	v_max3_f32 v48, |v68|, |v69|, v48                          // 00000000C03C: D1D30330 04C28B44
	v_max3_f32 v48, |v70|, |v71|, v48                          // 00000000C044: D1D30330 04C28F46
	v_max3_f32 v48, |v72|, |v73|, v48                          // 00000000C04C: D1D30330 04C29348
	v_max3_f32 v48, |v74|, |v75|, v48                          // 00000000C054: D1D30330 04C2974A
	v_max3_f32 v48, |v76|, |v77|, v48                          // 00000000C05C: D1D30330 04C29B4C
	v_max3_f32 v48, |v78|, |v79|, v48                          // 00000000C064: D1D30330 04C29F4E
	s_nop 2                                                    // 00000000C06C: BF800002
	v_rcp_f32_e32 v48, v48                                     // 00000000C070: 7E604530
	s_nop 1                                                    // 00000000C074: BF800001
	v_mul_f32_e32 v48, 0x43700000, v48                         // 00000000C078: 0A6060FF 43700000
	v_mul_f32_e32 v112, v48, v240                              // 00000000C080: 0AE1E130
	v_mul_f32_e32 v113, v48, v241                              // 00000000C084: 0AE3E330
	v_mul_f32_e32 v114, v48, v242                              // 00000000C088: 0AE5E530
	v_mul_f32_e32 v115, v48, v243                              // 00000000C08C: 0AE7E730
	v_mul_f32_e32 v116, v48, v244                              // 00000000C090: 0AE9E930
	v_mul_f32_e32 v117, v48, v245                              // 00000000C094: 0AEBEB30
	v_mul_f32_e32 v118, v48, v246                              // 00000000C098: 0AEDED30
	v_mul_f32_e32 v119, v48, v247                              // 00000000C09C: 0AEFEF30
	v_mul_f32_e32 v120, v48, v248                              // 00000000C0A0: 0AF1F130
	v_mul_f32_e32 v121, v48, v249                              // 00000000C0A4: 0AF3F330
	v_mul_f32_e32 v122, v48, v250                              // 00000000C0A8: 0AF5F530
	v_mul_f32_e32 v123, v48, v251                              // 00000000C0AC: 0AF7F730
	v_mul_f32_e32 v124, v48, v252                              // 00000000C0B0: 0AF9F930
	v_mul_f32_e32 v125, v48, v253                              // 00000000C0B4: 0AFBFB30
	v_mul_f32_e32 v126, v48, v254                              // 00000000C0B8: 0AFDFD30
	v_mul_f32_e32 v127, v48, v255                              // 00000000C0BC: 0AFFFF30
	v_cvt_pk_fp8_f32 v112, v112, v113                          // 00000000C0C0: D2A20070 0002E370
	v_cvt_pk_fp8_f32 v112, v114, v115 op_sel:[0,0,1]           // 00000000C0C8: D2A24070 0002E772
	v_cvt_pk_fp8_f32 v113, v116, v117                          // 00000000C0D0: D2A20071 0002EB74
	v_cvt_pk_fp8_f32 v113, v118, v119 op_sel:[0,0,1]           // 00000000C0D8: D2A24071 0002EF76
	v_cvt_pk_fp8_f32 v114, v120, v121                          // 00000000C0E0: D2A20072 0002F378
	v_cvt_pk_fp8_f32 v114, v122, v123 op_sel:[0,0,1]           // 00000000C0E8: D2A24072 0002F77A
	v_cvt_pk_fp8_f32 v115, v124, v125                          // 00000000C0F0: D2A20073 0002FB7C
	v_cvt_pk_fp8_f32 v115, v126, v127 op_sel:[0,0,1]           // 00000000C0F8: D2A24073 0002FF7E
	ds_write_b32 v10, v112 offset:25088                        // 00000000C100: D81A6200 0000700A
	ds_write_b32 v10, v113 offset:26112                        // 00000000C108: D81A6600 0000710A
	ds_write_b32 v10, v114 offset:27136                        // 00000000C110: D81A6A00 0000720A
	ds_write_b32 v10, v115 offset:28160                        // 00000000C118: D81A6E00 0000730A
	v_add_f32_e32 v208, v208, v176                             // 00000000C120: 03A161D0
	v_add_f32_e32 v209, v209, v177                             // 00000000C124: 03A363D1
	v_add_f32_e32 v210, v210, v178                             // 00000000C128: 03A565D2
	v_add_f32_e32 v211, v211, v179                             // 00000000C12C: 03A767D3
	v_add_f32_e32 v212, v212, v180                             // 00000000C130: 03A969D4
	v_add_f32_e32 v213, v213, v181                             // 00000000C134: 03AB6BD5
	v_add_f32_e32 v214, v214, v182                             // 00000000C138: 03AD6DD6
	v_add_f32_e32 v215, v215, v183                             // 00000000C13C: 03AF6FD7
	v_rcp_f32_e32 v44, v48                                     // 00000000C140: 7E584530
	s_waitcnt lgkmcnt(0)                                       // 00000000C144: BF8CC07F
	s_barrier                                                  // 00000000C148: BF8A0000
	ds_read_b64 v[112:113], v9 offset:25088                    // 00000000C14C: D8EC6200 70000009
	ds_read_b64 v[114:115], v9 offset:25216                    // 00000000C154: D8EC6280 72000009
	ds_read_b64 v[116:117], v9 offset:26112                    // 00000000C15C: D8EC6600 74000009
	ds_read_b64 v[118:119], v9 offset:26240                    // 00000000C164: D8EC6680 76000009
	ds_read_b64 v[120:121], v9 offset:27136                    // 00000000C16C: D8EC6A00 78000009
	ds_read_b64 v[122:123], v9 offset:27264                    // 00000000C174: D8EC6A80 7A000009
	ds_read_b64 v[124:125], v9 offset:28160                    // 00000000C17C: D8EC6E00 7C000009
	ds_read_b64 v[126:127], v9 offset:28288                    // 00000000C184: D8EC6E80 7E000009
	v_mov_b32_dpp v64, v43 row_shr:4 row_mask:0xf bank_mask:0xf// 00000000C18C: 7E8002FA FF01142B
	v_mov_b32_dpp v65, v43 row_shl:4 row_mask:0xf bank_mask:0xf// 00000000C194: 7E8202FA FF01042B
	v_cndmask_b32_e64 v248, v43, v64, s[44:45]                 // 00000000C19C: D10000F8 00B2812B
	v_cndmask_b32_e64 v249, v65, v43, s[44:45]                 // 00000000C1A4: D10000F9 00B25741
	v_mov_b32_dpp v64, v248 row_shr:8 row_mask:0xf bank_mask:0xf// 00000000C1AC: 7E8002FA FF0118F8
	v_mov_b32_dpp v65, v248 row_shl:8 row_mask:0xf bank_mask:0xf// 00000000C1B4: 7E8202FA FF0108F8
	v_mov_b32_dpp v66, v249 row_shr:8 row_mask:0xf bank_mask:0xf// 00000000C1BC: 7E8402FA FF0118F9
	v_mov_b32_dpp v67, v249 row_shl:8 row_mask:0xf bank_mask:0xf// 00000000C1C4: 7E8602FA FF0108F9
	v_mov_b32_e32 v68, v248                                    // 00000000C1CC: 7E8803F8
	v_mov_b32_e32 v69, v249                                    // 00000000C1D0: 7E8A03F9
	v_cndmask_b32_e64 v248, v68, v64, s[42:43]                 // 00000000C1D4: D10000F8 00AA8144
	v_cndmask_b32_e64 v250, v68, v65, s[78:79]                 // 00000000C1DC: D10000FA 013A8344
	v_cndmask_b32_e64 v249, v69, v66, s[42:43]                 // 00000000C1E4: D10000F9 00AA8545
	v_cndmask_b32_e64 v251, v69, v67, s[78:79]                 // 00000000C1EC: D10000FB 013A8745
	v_mov_b32_dpp v64, v58 row_shr:4 row_mask:0xf bank_mask:0xf// 00000000C1F4: 7E8002FA FF01143A
	v_mov_b32_dpp v65, v58 row_shl:4 row_mask:0xf bank_mask:0xf// 00000000C1FC: 7E8202FA FF01043A
	v_cndmask_b32_e64 v252, v58, v64, s[44:45]                 // 00000000C204: D10000FC 00B2813A
	v_cndmask_b32_e64 v253, v65, v58, s[44:45]                 // 00000000C20C: D10000FD 00B27541
	v_mov_b32_dpp v64, v252 row_shr:8 row_mask:0xf bank_mask:0xf// 00000000C214: 7E8002FA FF0118FC
	v_mov_b32_dpp v65, v252 row_shl:8 row_mask:0xf bank_mask:0xf// 00000000C21C: 7E8202FA FF0108FC
	v_mov_b32_dpp v66, v253 row_shr:8 row_mask:0xf bank_mask:0xf// 00000000C224: 7E8402FA FF0118FD
	v_mov_b32_dpp v67, v253 row_shl:8 row_mask:0xf bank_mask:0xf// 00000000C22C: 7E8602FA FF0108FD
	v_mov_b32_e32 v68, v252                                    // 00000000C234: 7E8803FC
	v_mov_b32_e32 v69, v253                                    // 00000000C238: 7E8A03FD
	v_cndmask_b32_e64 v252, v68, v64, s[42:43]                 // 00000000C23C: D10000FC 00AA8144
	v_cndmask_b32_e64 v254, v68, v65, s[78:79]                 // 00000000C244: D10000FE 013A8344
	v_cndmask_b32_e64 v253, v69, v66, s[42:43]                 // 00000000C24C: D10000FD 00AA8545
	v_cndmask_b32_e64 v255, v69, v67, s[78:79]                 // 00000000C254: D10000FF 013A8745
	v_mul_f32_e32 v128, v19, v128                              // 00000000C25C: 0B010113
	v_mul_f32_e32 v129, v19, v129                              // 00000000C260: 0B030313
	v_mul_f32_e32 v130, v19, v130                              // 00000000C264: 0B050513
	v_mul_f32_e32 v131, v19, v131                              // 00000000C268: 0B070713
	v_mul_f32_e32 v132, v19, v132                              // 00000000C26C: 0B090913
	v_mul_f32_e32 v133, v19, v133                              // 00000000C270: 0B0B0B13
	v_mul_f32_e32 v134, v19, v134                              // 00000000C274: 0B0D0D13
	v_mul_f32_e32 v135, v19, v135                              // 00000000C278: 0B0F0F13
	v_mul_f32_e32 v136, v19, v136                              // 00000000C27C: 0B111113
	v_mul_f32_e32 v137, v19, v137                              // 00000000C280: 0B131313
	v_mul_f32_e32 v138, v19, v138                              // 00000000C284: 0B151513
	v_mul_f32_e32 v139, v19, v139                              // 00000000C288: 0B171713
	v_mul_f32_e32 v140, v19, v140                              // 00000000C28C: 0B191913
	v_mul_f32_e32 v141, v19, v141                              // 00000000C290: 0B1B1B13
	v_mul_f32_e32 v142, v19, v142                              // 00000000C294: 0B1D1D13
	v_mul_f32_e32 v143, v19, v143                              // 00000000C298: 0B1F1F13
	v_mul_f32_dpp v128, v248, v128 quad_perm:[0,0,0,0] row_mask:0xf bank_mask:0xf// 00000000C29C: 0B0100FA FF0000F8
	v_mul_f32_dpp v129, v248, v129 quad_perm:[1,1,1,1] row_mask:0xf bank_mask:0xf// 00000000C2A4: 0B0302FA FF0055F8
	v_mul_f32_dpp v130, v248, v130 quad_perm:[2,2,2,2] row_mask:0xf bank_mask:0xf// 00000000C2AC: 0B0504FA FF00AAF8
	v_mul_f32_dpp v131, v248, v131 quad_perm:[3,3,3,3] row_mask:0xf bank_mask:0xf// 00000000C2B4: 0B0706FA FF00FFF8
	v_mul_f32_dpp v132, v249, v132 quad_perm:[0,0,0,0] row_mask:0xf bank_mask:0xf// 00000000C2BC: 0B0908FA FF0000F9
	v_mul_f32_dpp v133, v249, v133 quad_perm:[1,1,1,1] row_mask:0xf bank_mask:0xf// 00000000C2C4: 0B0B0AFA FF0055F9
	v_mul_f32_dpp v134, v249, v134 quad_perm:[2,2,2,2] row_mask:0xf bank_mask:0xf// 00000000C2CC: 0B0D0CFA FF00AAF9
	v_mul_f32_dpp v135, v249, v135 quad_perm:[3,3,3,3] row_mask:0xf bank_mask:0xf// 00000000C2D4: 0B0F0EFA FF00FFF9
	v_mul_f32_dpp v136, v250, v136 quad_perm:[0,0,0,0] row_mask:0xf bank_mask:0xf// 00000000C2DC: 0B1110FA FF0000FA
	v_mul_f32_dpp v137, v250, v137 quad_perm:[1,1,1,1] row_mask:0xf bank_mask:0xf// 00000000C2E4: 0B1312FA FF0055FA
	v_mul_f32_dpp v138, v250, v138 quad_perm:[2,2,2,2] row_mask:0xf bank_mask:0xf// 00000000C2EC: 0B1514FA FF00AAFA
	v_mul_f32_dpp v139, v250, v139 quad_perm:[3,3,3,3] row_mask:0xf bank_mask:0xf// 00000000C2F4: 0B1716FA FF00FFFA
	v_mul_f32_dpp v140, v251, v140 quad_perm:[0,0,0,0] row_mask:0xf bank_mask:0xf// 00000000C2FC: 0B1918FA FF0000FB
	v_mul_f32_dpp v141, v251, v141 quad_perm:[1,1,1,1] row_mask:0xf bank_mask:0xf// 00000000C304: 0B1B1AFA FF0055FB
	v_mul_f32_dpp v142, v251, v142 quad_perm:[2,2,2,2] row_mask:0xf bank_mask:0xf// 00000000C30C: 0B1D1CFA FF00AAFB
	v_mul_f32_dpp v143, v251, v143 quad_perm:[3,3,3,3] row_mask:0xf bank_mask:0xf// 00000000C314: 0B1F1EFA FF00FFFB
	s_cmp_le_i32 s90, s89                                      // 00000000C31C: BF05595A
	s_cbranch_scc1 label_28BA                                  // 00000000C320: BF850071
	v_mov_b32_e32 v66, 0xff800000                              // 00000000C324: 7E8402FF FF800000
	s_mov_b32 s60, s90                                         // 00000000C32C: BEBC005A
	s_add_u32 s61, s89, 0xff                                   // 00000000C330: 803DFF59 000000FF
	v_mov_b32_e32 v64, s61                                     // 00000000C338: 7E80023D
	v_lshrrev_b32_e32 v240, 4, v0                              // 00000000C33C: 21E00084
	v_mul_i32_i24_e32 v240, 4, v240                            // 00000000C340: 0DE1E084
	v_add_u32_e32 v240, s60, v240                              // 00000000C344: 69E1E03C
	s_mov_b32 s61, 1                                           // 00000000C348: BEBD0081
	s_mul_i32 s60, 16, s7                                      // 00000000C34C: 923C0790
	v_sub_u32_e64 v240, v240, s61                              // 00000000C350: D13500F0 00007BF0
	v_add_u32_e32 v240, s60, v240                              // 00000000C358: 69E1E03C
	v_add_u32_e32 v241, 1, v240                                // 00000000C35C: 69E3E081
	v_add_u32_e32 v242, 2, v240                                // 00000000C360: 69E5E082
	v_add_u32_e32 v243, 3, v240                                // 00000000C364: 69E7E083
	v_cmp_le_u32_e64 s[40:41], v240, v64                       // 00000000C368: D0CB0028 000281F0
	v_add_u32_e32 v240, 64, v240                               // 00000000C370: 69E1E0C0
	s_nop 0                                                    // 00000000C374: BF800000
	v_cndmask_b32_e64 v128, v66, v128, s[40:41]                // 00000000C378: D1000080 00A30142
	v_cmp_le_u32_e64 s[40:41], v241, v64                       // 00000000C380: D0CB0028 000281F1
	v_add_u32_e32 v241, 64, v241                               // 00000000C388: 69E3E2C0
	s_nop 0                                                    // 00000000C38C: BF800000
	v_cndmask_b32_e64 v129, v66, v129, s[40:41]                // 00000000C390: D1000081 00A30342
	v_cmp_le_u32_e64 s[40:41], v242, v64                       // 00000000C398: D0CB0028 000281F2
	v_add_u32_e32 v242, 64, v242                               // 00000000C3A0: 69E5E4C0
	s_nop 0                                                    // 00000000C3A4: BF800000
	v_cndmask_b32_e64 v130, v66, v130, s[40:41]                // 00000000C3A8: D1000082 00A30542
	v_cmp_le_u32_e64 s[40:41], v243, v64                       // 00000000C3B0: D0CB0028 000281F3
	v_add_u32_e32 v243, 64, v243                               // 00000000C3B8: 69E7E6C0
	s_nop 0                                                    // 00000000C3BC: BF800000
	v_cndmask_b32_e64 v131, v66, v131, s[40:41]                // 00000000C3C0: D1000083 00A30742
	v_cmp_le_u32_e64 s[40:41], v240, v64                       // 00000000C3C8: D0CB0028 000281F0
	v_add_u32_e32 v240, 64, v240                               // 00000000C3D0: 69E1E0C0
	s_nop 0                                                    // 00000000C3D4: BF800000
	v_cndmask_b32_e64 v132, v66, v132, s[40:41]                // 00000000C3D8: D1000084 00A30942
	v_cmp_le_u32_e64 s[40:41], v241, v64                       // 00000000C3E0: D0CB0028 000281F1
	v_add_u32_e32 v241, 64, v241                               // 00000000C3E8: 69E3E2C0
	s_nop 0                                                    // 00000000C3EC: BF800000
	v_cndmask_b32_e64 v133, v66, v133, s[40:41]                // 00000000C3F0: D1000085 00A30B42
	v_cmp_le_u32_e64 s[40:41], v242, v64                       // 00000000C3F8: D0CB0028 000281F2
	v_add_u32_e32 v242, 64, v242                               // 00000000C400: 69E5E4C0
	s_nop 0                                                    // 00000000C404: BF800000
	v_cndmask_b32_e64 v134, v66, v134, s[40:41]                // 00000000C408: D1000086 00A30D42
	v_cmp_le_u32_e64 s[40:41], v243, v64                       // 00000000C410: D0CB0028 000281F3
	v_add_u32_e32 v243, 64, v243                               // 00000000C418: 69E7E6C0
	s_nop 0                                                    // 00000000C41C: BF800000
	v_cndmask_b32_e64 v135, v66, v135, s[40:41]                // 00000000C420: D1000087 00A30F42
	v_cmp_le_u32_e64 s[40:41], v240, v64                       // 00000000C428: D0CB0028 000281F0
	v_add_u32_e32 v240, 64, v240                               // 00000000C430: 69E1E0C0
	s_nop 0                                                    // 00000000C434: BF800000
	v_cndmask_b32_e64 v136, v66, v136, s[40:41]                // 00000000C438: D1000088 00A31142
	v_cmp_le_u32_e64 s[40:41], v241, v64                       // 00000000C440: D0CB0028 000281F1
	v_add_u32_e32 v241, 64, v241                               // 00000000C448: 69E3E2C0
	s_nop 0                                                    // 00000000C44C: BF800000
	v_cndmask_b32_e64 v137, v66, v137, s[40:41]                // 00000000C450: D1000089 00A31342
	v_cmp_le_u32_e64 s[40:41], v242, v64                       // 00000000C458: D0CB0028 000281F2
	v_add_u32_e32 v242, 64, v242                               // 00000000C460: 69E5E4C0
	s_nop 0                                                    // 00000000C464: BF800000
	v_cndmask_b32_e64 v138, v66, v138, s[40:41]                // 00000000C468: D100008A 00A31542
	v_cmp_le_u32_e64 s[40:41], v243, v64                       // 00000000C470: D0CB0028 000281F3
	v_add_u32_e32 v243, 64, v243                               // 00000000C478: 69E7E6C0
	s_nop 0                                                    // 00000000C47C: BF800000
	v_cndmask_b32_e64 v139, v66, v139, s[40:41]                // 00000000C480: D100008B 00A31742
	v_cmp_le_u32_e64 s[40:41], v240, v64                       // 00000000C488: D0CB0028 000281F0
	v_add_u32_e32 v240, 64, v240                               // 00000000C490: 69E1E0C0
	s_nop 0                                                    // 00000000C494: BF800000
	v_cndmask_b32_e64 v140, v66, v140, s[40:41]                // 00000000C498: D100008C 00A31942
	v_cmp_le_u32_e64 s[40:41], v241, v64                       // 00000000C4A0: D0CB0028 000281F1
	v_add_u32_e32 v241, 64, v241                               // 00000000C4A8: 69E3E2C0
	s_nop 0                                                    // 00000000C4AC: BF800000
	v_cndmask_b32_e64 v141, v66, v141, s[40:41]                // 00000000C4B0: D100008D 00A31B42
	v_cmp_le_u32_e64 s[40:41], v242, v64                       // 00000000C4B8: D0CB0028 000281F2
	v_add_u32_e32 v242, 64, v242                               // 00000000C4C0: 69E5E4C0
	s_nop 0                                                    // 00000000C4C4: BF800000
	v_cndmask_b32_e64 v142, v66, v142, s[40:41]                // 00000000C4C8: D100008E 00A31D42
	v_cmp_le_u32_e64 s[40:41], v243, v64                       // 00000000C4D0: D0CB0028 000281F3
	v_add_u32_e32 v243, 64, v243                               // 00000000C4D8: 69E7E6C0
	s_nop 0                                                    // 00000000C4DC: BF800000
	v_cndmask_b32_e64 v143, v66, v143, s[40:41]                // 00000000C4E0: D100008F 00A31F42

000000000000c4e8 <label_28BA>:
	s_add_u32 s90, s91, s90                                    // 00000000C4E8: 805A5A5B
	v_mov_b32_e32 v48, v128                                    // 00000000C4EC: 7E600380
	v_max3_f32 v48, v128, v129, v48                            // 00000000C4F0: D1D30030 04C30380
	v_max3_f32 v48, v130, v131, v48                            // 00000000C4F8: D1D30030 04C30782
	v_max3_f32 v48, v132, v133, v48                            // 00000000C500: D1D30030 04C30B84
	v_max3_f32 v48, v134, v135, v48                            // 00000000C508: D1D30030 04C30F86
	v_max3_f32 v48, v136, v137, v48                            // 00000000C510: D1D30030 04C31388
	v_max3_f32 v48, v138, v139, v48                            // 00000000C518: D1D30030 04C3178A
	v_max3_f32 v48, v140, v141, v48                            // 00000000C520: D1D30030 04C31B8C
	v_max3_f32 v48, v142, v143, v48                            // 00000000C528: D1D30030 04C31F8E
	ds_write_b32 v8, v48 offset:16896                          // 00000000C530: D81A4200 00003008
	v_mul_f32_e32 v216, v50, v216                              // 00000000C538: 0BB1B132
	v_mul_f32_e32 v217, v50, v217                              // 00000000C53C: 0BB3B332
	v_mul_f32_e32 v218, v50, v218                              // 00000000C540: 0BB5B532
	v_mul_f32_e32 v219, v50, v219                              // 00000000C544: 0BB7B732
	v_mul_f32_e32 v220, v50, v220                              // 00000000C548: 0BB9B932
	v_mul_f32_e32 v221, v50, v221                              // 00000000C54C: 0BBBBB32
	v_mul_f32_e32 v222, v50, v222                              // 00000000C550: 0BBDBD32
	v_mul_f32_e32 v223, v50, v223                              // 00000000C554: 0BBFBF32
	s_waitcnt lgkmcnt(0)                                       // 00000000C558: BF8CC07F
	s_barrier                                                  // 00000000C55C: BF8A0000
	ds_read_b32 v64, v7 offset:16896                           // 00000000C560: D86C4200 40000007
	ds_read_b32 v65, v7 offset:16960                           // 00000000C568: D86C4240 41000007
	ds_read_b32 v66, v7 offset:17024                           // 00000000C570: D86C4280 42000007
	ds_read_b32 v67, v7 offset:17088                           // 00000000C578: D86C42C0 43000007
	ds_read_b32 v68, v7 offset:17152                           // 00000000C580: D86C4300 44000007
	ds_read_b32 v69, v7 offset:17216                           // 00000000C588: D86C4340 45000007
	ds_read_b32 v70, v7 offset:17280                           // 00000000C590: D86C4380 46000007
	ds_read_b32 v71, v7 offset:17344                           // 00000000C598: D86C43C0 47000007
	ds_read_b32 v72, v7 offset:17408                           // 00000000C5A0: D86C4400 48000007
	ds_read_b32 v73, v7 offset:17472                           // 00000000C5A8: D86C4440 49000007
	ds_read_b32 v74, v7 offset:17536                           // 00000000C5B0: D86C4480 4A000007
	ds_read_b32 v75, v7 offset:17600                           // 00000000C5B8: D86C44C0 4B000007
	ds_read_b32 v76, v7 offset:17664                           // 00000000C5C0: D86C4500 4C000007
	ds_read_b32 v77, v7 offset:17728                           // 00000000C5C8: D86C4540 4D000007
	ds_read_b32 v78, v7 offset:17792                           // 00000000C5D0: D86C4580 4E000007
	ds_read_b32 v79, v7 offset:17856                           // 00000000C5D8: D86C45C0 4F000007
	v_mul_f32_e32 v184, v45, v184                              // 00000000C5E0: 0B71712D
	v_mul_f32_e32 v185, v45, v185                              // 00000000C5E4: 0B73732D
	v_mul_f32_e32 v186, v45, v186                              // 00000000C5E8: 0B75752D
	v_mul_f32_e32 v187, v45, v187                              // 00000000C5EC: 0B77772D
	v_mul_f32_e32 v188, v45, v188                              // 00000000C5F0: 0B79792D
	v_mul_f32_e32 v189, v45, v189                              // 00000000C5F4: 0B7B7B2D
	v_mul_f32_e32 v190, v45, v190                              // 00000000C5F8: 0B7D7D2D
	v_mul_f32_e32 v191, v45, v191                              // 00000000C5FC: 0B7F7F2D
	s_waitcnt lgkmcnt(0)                                       // 00000000C600: BF8CC07F
	v_max3_f32 v48, v64, v65, v48                              // 00000000C604: D1D30030 04C28340
	v_max3_f32 v48, v66, v67, v48                              // 00000000C60C: D1D30030 04C28742
	v_max3_f32 v48, v68, v69, v48                              // 00000000C614: D1D30030 04C28B44
	v_max3_f32 v48, v70, v71, v48                              // 00000000C61C: D1D30030 04C28F46
	v_max3_f32 v48, v72, v73, v48                              // 00000000C624: D1D30030 04C29348
	v_max3_f32 v48, v74, v75, v48                              // 00000000C62C: D1D30030 04C2974A
	v_max3_f32 v48, v76, v77, v48                              // 00000000C634: D1D30030 04C29B4C
	v_max3_f32 v48, v78, v79, v48                              // 00000000C63C: D1D30030 04C29F4E
	v_mov_b32_e32 v64, 0xff800000                              // 00000000C644: 7E8002FF FF800000
	v_cmp_eq_u32_e64 s[40:41], v64, v12                        // 00000000C64C: D0CA0028 00021940
	s_nop 1                                                    // 00000000C654: BF800001
	v_max_f32_e32 v15, v48, v12                                // 00000000C658: 161E1930
	v_mul_f32_e32 v53, s64, v15                                // 00000000C65C: 0A6A1E40
	v_fma_f32 v128, v128, s64, -v53                            // 00000000C660: D1CB0080 84D48180
	v_fma_f32 v129, v129, s64, -v53                            // 00000000C668: D1CB0081 84D48181
	v_fma_f32 v130, v130, s64, -v53                            // 00000000C670: D1CB0082 84D48182
	v_fma_f32 v131, v131, s64, -v53                            // 00000000C678: D1CB0083 84D48183
	v_fma_f32 v132, v132, s64, -v53                            // 00000000C680: D1CB0084 84D48184
	v_fma_f32 v133, v133, s64, -v53                            // 00000000C688: D1CB0085 84D48185
	v_fma_f32 v134, v134, s64, -v53                            // 00000000C690: D1CB0086 84D48186
	v_fma_f32 v135, v135, s64, -v53                            // 00000000C698: D1CB0087 84D48187
	v_fma_f32 v136, v136, s64, -v53                            // 00000000C6A0: D1CB0088 84D48188
	v_fma_f32 v137, v137, s64, -v53                            // 00000000C6A8: D1CB0089 84D48189
	v_fma_f32 v138, v138, s64, -v53                            // 00000000C6B0: D1CB008A 84D4818A
	v_fma_f32 v139, v139, s64, -v53                            // 00000000C6B8: D1CB008B 84D4818B
	v_fma_f32 v140, v140, s64, -v53                            // 00000000C6C0: D1CB008C 84D4818C
	v_fma_f32 v141, v141, s64, -v53                            // 00000000C6C8: D1CB008D 84D4818D
	v_fma_f32 v142, v142, s64, -v53                            // 00000000C6D0: D1CB008E 84D4818E
	v_fma_f32 v143, v143, s64, -v53                            // 00000000C6D8: D1CB008F 84D4818F
	v_exp_f32_e32 v128, v128                                   // 00000000C6E0: 7F004180
	v_exp_f32_e32 v129, v129                                   // 00000000C6E4: 7F024181
	v_exp_f32_e32 v130, v130                                   // 00000000C6E8: 7F044182
	v_exp_f32_e32 v131, v131                                   // 00000000C6EC: 7F064183
	v_exp_f32_e32 v132, v132                                   // 00000000C6F0: 7F084184
	v_exp_f32_e32 v133, v133                                   // 00000000C6F4: 7F0A4185
	v_exp_f32_e32 v134, v134                                   // 00000000C6F8: 7F0C4186
	v_exp_f32_e32 v135, v135                                   // 00000000C6FC: 7F0E4187
	v_exp_f32_e32 v136, v136                                   // 00000000C700: 7F104188
	v_exp_f32_e32 v137, v137                                   // 00000000C704: 7F124189
	v_exp_f32_e32 v138, v138                                   // 00000000C708: 7F14418A
	v_exp_f32_e32 v139, v139                                   // 00000000C70C: 7F16418B
	v_exp_f32_e32 v140, v140                                   // 00000000C710: 7F18418C
	v_exp_f32_e32 v141, v141                                   // 00000000C714: 7F1A418D
	v_exp_f32_e32 v142, v142                                   // 00000000C718: 7F1C418E
	v_exp_f32_e32 v143, v143                                   // 00000000C71C: 7F1E418F
	v_mul_f32_dpp v240, v252, v128 quad_perm:[0,0,0,0] row_mask:0xf bank_mask:0xf// 00000000C720: 0BE100FA FF0000FC
	v_mul_f32_dpp v241, v252, v129 quad_perm:[1,1,1,1] row_mask:0xf bank_mask:0xf// 00000000C728: 0BE302FA FF0055FC
	v_mul_f32_dpp v242, v252, v130 quad_perm:[2,2,2,2] row_mask:0xf bank_mask:0xf// 00000000C730: 0BE504FA FF00AAFC
	v_mul_f32_dpp v243, v252, v131 quad_perm:[3,3,3,3] row_mask:0xf bank_mask:0xf// 00000000C738: 0BE706FA FF00FFFC
	v_mul_f32_dpp v244, v253, v132 quad_perm:[0,0,0,0] row_mask:0xf bank_mask:0xf// 00000000C740: 0BE908FA FF0000FD
	v_mul_f32_dpp v245, v253, v133 quad_perm:[1,1,1,1] row_mask:0xf bank_mask:0xf// 00000000C748: 0BEB0AFA FF0055FD
	v_mul_f32_dpp v246, v253, v134 quad_perm:[2,2,2,2] row_mask:0xf bank_mask:0xf// 00000000C750: 0BED0CFA FF00AAFD
	v_mul_f32_dpp v247, v253, v135 quad_perm:[3,3,3,3] row_mask:0xf bank_mask:0xf// 00000000C758: 0BEF0EFA FF00FFFD
	v_mul_f32_dpp v248, v254, v136 quad_perm:[0,0,0,0] row_mask:0xf bank_mask:0xf// 00000000C760: 0BF110FA FF0000FE
	v_mul_f32_dpp v249, v254, v137 quad_perm:[1,1,1,1] row_mask:0xf bank_mask:0xf// 00000000C768: 0BF312FA FF0055FE
	v_mul_f32_dpp v250, v254, v138 quad_perm:[2,2,2,2] row_mask:0xf bank_mask:0xf// 00000000C770: 0BF514FA FF00AAFE
	v_mul_f32_dpp v251, v254, v139 quad_perm:[3,3,3,3] row_mask:0xf bank_mask:0xf// 00000000C778: 0BF716FA FF00FFFE
	v_mul_f32_dpp v252, v255, v140 quad_perm:[0,0,0,0] row_mask:0xf bank_mask:0xf// 00000000C780: 0BF918FA FF0000FF
	v_mul_f32_dpp v253, v255, v141 quad_perm:[1,1,1,1] row_mask:0xf bank_mask:0xf// 00000000C788: 0BFB1AFA FF0055FF
	v_mul_f32_dpp v254, v255, v142 quad_perm:[2,2,2,2] row_mask:0xf bank_mask:0xf// 00000000C790: 0BFD1CFA FF00AAFF
	v_mul_f32_dpp v255, v255, v143 quad_perm:[3,3,3,3] row_mask:0xf bank_mask:0xf// 00000000C798: 0BFF1EFA FF00FFFF
	v_mov_b32_e32 v48, 0x358637bd                              // 00000000C7A0: 7E6002FF 358637BD
	v_max3_f32 v48, |v240|, |v241|, v48                        // 00000000C7A8: D1D30330 04C3E3F0
	v_max3_f32 v48, |v242|, |v243|, v48                        // 00000000C7B0: D1D30330 04C3E7F2
	v_max3_f32 v48, |v244|, |v245|, v48                        // 00000000C7B8: D1D30330 04C3EBF4
	v_max3_f32 v48, |v246|, |v247|, v48                        // 00000000C7C0: D1D30330 04C3EFF6
	v_max3_f32 v48, |v248|, |v249|, v48                        // 00000000C7C8: D1D30330 04C3F3F8
	v_max3_f32 v48, |v250|, |v251|, v48                        // 00000000C7D0: D1D30330 04C3F7FA
	v_max3_f32 v48, |v252|, |v253|, v48                        // 00000000C7D8: D1D30330 04C3FBFC
	v_max3_f32 v48, |v254|, |v255|, v48                        // 00000000C7E0: D1D30330 04C3FFFE
	ds_write_b32 v8, v48 offset:20992                          // 00000000C7E8: D81A5200 00003008
	v_sub_f32_e32 v50, v12, v15                                // 00000000C7F0: 04641F0C
	v_cndmask_b32_e64 v50, v50, 0, s[40:41]                    // 00000000C7F4: D1000032 00A10132
	v_mov_b32_e32 v12, v15                                     // 00000000C7FC: 7E18030F
	v_mul_f32_e32 v50, s64, v50                                // 00000000C800: 0A646440
	v_exp_f32_e32 v50, v50                                     // 00000000C804: 7E644132
	s_waitcnt lgkmcnt(0)                                       // 00000000C808: BF8CC07F
	s_barrier                                                  // 00000000C80C: BF8A0000
	ds_read_b32 v64, v7 offset:20992                           // 00000000C810: D86C5200 40000007
	ds_read_b32 v65, v7 offset:21056                           // 00000000C818: D86C5240 41000007
	ds_read_b32 v66, v7 offset:21120                           // 00000000C820: D86C5280 42000007
	ds_read_b32 v67, v7 offset:21184                           // 00000000C828: D86C52C0 43000007
	ds_read_b32 v68, v7 offset:21248                           // 00000000C830: D86C5300 44000007
	ds_read_b32 v69, v7 offset:21312                           // 00000000C838: D86C5340 45000007
	ds_read_b32 v70, v7 offset:21376                           // 00000000C840: D86C5380 46000007
	ds_read_b32 v71, v7 offset:21440                           // 00000000C848: D86C53C0 47000007
	ds_read_b32 v72, v7 offset:21504                           // 00000000C850: D86C5400 48000007
	ds_read_b32 v73, v7 offset:21568                           // 00000000C858: D86C5440 49000007
	ds_read_b32 v74, v7 offset:21632                           // 00000000C860: D86C5480 4A000007
	ds_read_b32 v75, v7 offset:21696                           // 00000000C868: D86C54C0 4B000007
	ds_read_b32 v76, v7 offset:21760                           // 00000000C870: D86C5500 4C000007
	ds_read_b32 v77, v7 offset:21824                           // 00000000C878: D86C5540 4D000007
	ds_read_b32 v78, v7 offset:21888                           // 00000000C880: D86C5580 4E000007
	ds_read_b32 v79, v7 offset:21952                           // 00000000C888: D86C55C0 4F000007
	v_mul_f32_e32 v39, v50, v39                                // 00000000C890: 0A4E4F32
	v_mov_b32_e32 v15, v128                                    // 00000000C894: 7E1E0380
	v_add_f32_e32 v15, v129, v15                               // 00000000C898: 021E1F81
	v_add_f32_e32 v15, v130, v15                               // 00000000C89C: 021E1F82
	v_add_f32_e32 v15, v131, v15                               // 00000000C8A0: 021E1F83
	v_add_f32_e32 v15, v132, v15                               // 00000000C8A4: 021E1F84
	v_add_f32_e32 v15, v133, v15                               // 00000000C8A8: 021E1F85
	v_add_f32_e32 v15, v134, v15                               // 00000000C8AC: 021E1F86
	v_add_f32_e32 v15, v135, v15                               // 00000000C8B0: 021E1F87
	v_add_f32_e32 v15, v136, v15                               // 00000000C8B4: 021E1F88
	v_add_f32_e32 v15, v137, v15                               // 00000000C8B8: 021E1F89
	v_add_f32_e32 v15, v138, v15                               // 00000000C8BC: 021E1F8A
	v_add_f32_e32 v15, v139, v15                               // 00000000C8C0: 021E1F8B
	v_add_f32_e32 v15, v140, v15                               // 00000000C8C4: 021E1F8C
	v_add_f32_e32 v15, v141, v15                               // 00000000C8C8: 021E1F8D
	v_add_f32_e32 v15, v142, v15                               // 00000000C8CC: 021E1F8E
	v_add_f32_e32 v15, v143, v15                               // 00000000C8D0: 021E1F8F
	v_add_f32_e32 v39, v15, v39                                // 00000000C8D4: 024E4F0F
	s_waitcnt lgkmcnt(0)                                       // 00000000C8D8: BF8CC07F
	v_max3_f32 v48, |v64|, |v65|, v48                          // 00000000C8DC: D1D30330 04C28340
	v_max3_f32 v48, |v66|, |v67|, v48                          // 00000000C8E4: D1D30330 04C28742
	v_max3_f32 v48, |v68|, |v69|, v48                          // 00000000C8EC: D1D30330 04C28B44
	v_max3_f32 v48, |v70|, |v71|, v48                          // 00000000C8F4: D1D30330 04C28F46
	v_max3_f32 v48, |v72|, |v73|, v48                          // 00000000C8FC: D1D30330 04C29348
	v_max3_f32 v48, |v74|, |v75|, v48                          // 00000000C904: D1D30330 04C2974A
	v_max3_f32 v48, |v76|, |v77|, v48                          // 00000000C90C: D1D30330 04C29B4C
	v_max3_f32 v48, |v78|, |v79|, v48                          // 00000000C914: D1D30330 04C29F4E
	s_nop 2                                                    // 00000000C91C: BF800002
	v_rcp_f32_e32 v48, v48                                     // 00000000C920: 7E604530
	s_nop 1                                                    // 00000000C924: BF800001
	v_mul_f32_e32 v48, 0x43700000, v48                         // 00000000C928: 0A6060FF 43700000
	v_mul_f32_e32 v128, v48, v240                              // 00000000C930: 0B01E130
	v_mul_f32_e32 v129, v48, v241                              // 00000000C934: 0B03E330
	v_mul_f32_e32 v130, v48, v242                              // 00000000C938: 0B05E530
	v_mul_f32_e32 v131, v48, v243                              // 00000000C93C: 0B07E730
	v_mul_f32_e32 v132, v48, v244                              // 00000000C940: 0B09E930
	v_mul_f32_e32 v133, v48, v245                              // 00000000C944: 0B0BEB30
	v_mul_f32_e32 v134, v48, v246                              // 00000000C948: 0B0DED30
	v_mul_f32_e32 v135, v48, v247                              // 00000000C94C: 0B0FEF30
	v_mul_f32_e32 v136, v48, v248                              // 00000000C950: 0B11F130
	v_mul_f32_e32 v137, v48, v249                              // 00000000C954: 0B13F330
	v_mul_f32_e32 v138, v48, v250                              // 00000000C958: 0B15F530
	v_mul_f32_e32 v139, v48, v251                              // 00000000C95C: 0B17F730
	v_mul_f32_e32 v140, v48, v252                              // 00000000C960: 0B19F930
	v_mul_f32_e32 v141, v48, v253                              // 00000000C964: 0B1BFB30
	v_mul_f32_e32 v142, v48, v254                              // 00000000C968: 0B1DFD30
	v_mul_f32_e32 v143, v48, v255                              // 00000000C96C: 0B1FFF30
	v_cvt_pk_fp8_f32 v128, v128, v129                          // 00000000C970: D2A20080 00030380
	v_cvt_pk_fp8_f32 v128, v130, v131 op_sel:[0,0,1]           // 00000000C978: D2A24080 00030782
	v_cvt_pk_fp8_f32 v129, v132, v133                          // 00000000C980: D2A20081 00030B84
	v_cvt_pk_fp8_f32 v129, v134, v135 op_sel:[0,0,1]           // 00000000C988: D2A24081 00030F86
	v_cvt_pk_fp8_f32 v130, v136, v137                          // 00000000C990: D2A20082 00031388
	v_cvt_pk_fp8_f32 v130, v138, v139 op_sel:[0,0,1]           // 00000000C998: D2A24082 0003178A
	v_cvt_pk_fp8_f32 v131, v140, v141                          // 00000000C9A0: D2A20083 00031B8C
	v_cvt_pk_fp8_f32 v131, v142, v143 op_sel:[0,0,1]           // 00000000C9A8: D2A24083 00031F8E
	ds_write_b32 v10, v128 offset:29184                        // 00000000C9B0: D81A7200 0000800A
	ds_write_b32 v10, v129 offset:30208                        // 00000000C9B8: D81A7600 0000810A
	ds_write_b32 v10, v130 offset:31232                        // 00000000C9C0: D81A7A00 0000820A
	ds_write_b32 v10, v131 offset:32256                        // 00000000C9C8: D81A7E00 0000830A
	v_add_f32_e32 v216, v216, v184                             // 00000000C9D0: 03B171D8
	v_add_f32_e32 v217, v217, v185                             // 00000000C9D4: 03B373D9
	v_add_f32_e32 v218, v218, v186                             // 00000000C9D8: 03B575DA
	v_add_f32_e32 v219, v219, v187                             // 00000000C9DC: 03B777DB
	v_add_f32_e32 v220, v220, v188                             // 00000000C9E0: 03B979DC
	v_add_f32_e32 v221, v221, v189                             // 00000000C9E4: 03BB7BDD
	v_add_f32_e32 v222, v222, v190                             // 00000000C9E8: 03BD7DDE
	v_add_f32_e32 v223, v223, v191                             // 00000000C9EC: 03BF7FDF
	v_rcp_f32_e32 v45, v48                                     // 00000000C9F0: 7E5A4530
	s_waitcnt lgkmcnt(0)                                       // 00000000C9F4: BF8CC07F
	s_barrier                                                  // 00000000C9F8: BF8A0000
	ds_read_b64 v[128:129], v9 offset:29184                    // 00000000C9FC: D8EC7200 80000009
	ds_read_b64 v[130:131], v9 offset:29312                    // 00000000CA04: D8EC7280 82000009
	ds_read_b64 v[132:133], v9 offset:30208                    // 00000000CA0C: D8EC7600 84000009
	ds_read_b64 v[134:135], v9 offset:30336                    // 00000000CA14: D8EC7680 86000009
	ds_read_b64 v[136:137], v9 offset:31232                    // 00000000CA1C: D8EC7A00 88000009
	ds_read_b64 v[138:139], v9 offset:31360                    // 00000000CA24: D8EC7A80 8A000009
	ds_read_b64 v[140:141], v9 offset:32256                    // 00000000CA2C: D8EC7E00 8C000009
	ds_read_b64 v[142:143], v9 offset:32384                    // 00000000CA34: D8EC7E80 8E000009
	s_waitcnt vmcnt(15)                                        // 00000000CA3C: BF8C0F7F
	v_mfma_f32_16x16x32_fp8_fp8 v[176:179], a[96:97], v[112:113], 0// 00000000CA40: D3F300B0 0A02E160
	buffer_load_dwordx4 a[80:83], v30, s[20:23], 0 offen offset:1024// 00000000CA48: E05C1400 8085501E
	v_mfma_f32_16x16x32_fp8_fp8 v[176:179], a[98:99], v[114:115], v[176:179]// 00000000CA50: D3F300B0 0EC2E562
	v_mfma_f32_16x16x32_fp8_fp8 v[176:179], a[100:101], v[116:117], v[176:179]// 00000000CA58: D3F300B0 0EC2E964
	v_mfma_f32_16x16x32_fp8_fp8 v[176:179], a[102:103], v[118:119], v[176:179]// 00000000CA60: D3F300B0 0EC2ED66
	v_mfma_f32_16x16x32_fp8_fp8 v[176:179], a[104:105], v[120:121], v[176:179]// 00000000CA68: D3F300B0 0EC2F168
	buffer_load_dwordx4 a[84:87], v31, s[20:23], 0 offen offset:1024// 00000000CA70: E05C1400 8085541F
	v_mfma_f32_16x16x32_fp8_fp8 v[176:179], a[106:107], v[122:123], v[176:179]// 00000000CA78: D3F300B0 0EC2F56A
	v_mfma_f32_16x16x32_fp8_fp8 v[176:179], a[108:109], v[124:125], v[176:179]// 00000000CA80: D3F300B0 0EC2F96C
	v_mfma_f32_16x16x32_fp8_fp8 v[176:179], a[110:111], v[126:127], v[176:179]// 00000000CA88: D3F300B0 0EC2FD6E
	v_mfma_f32_16x16x32_fp8_fp8 v[180:183], a[112:113], v[112:113], 0// 00000000CA90: D3F300B4 0A02E170
	buffer_load_dwordx4 a[88:91], v32, s[20:23], 0 offen offset:1024// 00000000CA98: E05C1400 80855820
	v_mfma_f32_16x16x32_fp8_fp8 v[180:183], a[114:115], v[114:115], v[180:183]// 00000000CAA0: D3F300B4 0ED2E572
	v_mfma_f32_16x16x32_fp8_fp8 v[180:183], a[116:117], v[116:117], v[180:183]// 00000000CAA8: D3F300B4 0ED2E974
	v_mfma_f32_16x16x32_fp8_fp8 v[180:183], a[118:119], v[118:119], v[180:183]// 00000000CAB0: D3F300B4 0ED2ED76
	v_mfma_f32_16x16x32_fp8_fp8 v[180:183], a[120:121], v[120:121], v[180:183]// 00000000CAB8: D3F300B4 0ED2F178
	buffer_load_dwordx4 a[92:95], v33, s[20:23], 0 offen offset:1024// 00000000CAC0: E05C1400 80855C21
	v_mfma_f32_16x16x32_fp8_fp8 v[180:183], a[122:123], v[122:123], v[180:183]// 00000000CAC8: D3F300B4 0ED2F57A
	v_mfma_f32_16x16x32_fp8_fp8 v[180:183], a[124:125], v[124:125], v[180:183]// 00000000CAD0: D3F300B4 0ED2F97C
	s_lshr_b32 s57, s70, 4                                     // 00000000CAD8: 8F398446
	s_add_u32 s57, 48, s57                                     // 00000000CADC: 803939B0
	v_mfma_f32_16x16x32_fp8_fp8 v[180:183], a[126:127], v[126:127], v[180:183]// 00000000CAE0: D3F300B4 0ED2FD7E
	s_cmp_ge_u32 s57, s73                                      // 00000000CAE8: BF094939
	s_cselect_b32 s56, 0, s56                                  // 00000000CAEC: 85383880
	v_mfma_f32_16x16x32_fp8_fp8 v[184:187], a[96:97], v[128:129], 0// 00000000CAF0: D3F300B8 0A030160
	v_mfma_f32_16x16x32_fp8_fp8 v[184:187], a[98:99], v[130:131], v[184:187]// 00000000CAF8: D3F300B8 0EE30562
	v_mfma_f32_16x16x32_fp8_fp8 v[184:187], a[100:101], v[132:133], v[184:187]// 00000000CB00: D3F300B8 0EE30964
	v_mfma_f32_16x16x32_fp8_fp8 v[184:187], a[102:103], v[134:135], v[184:187]// 00000000CB08: D3F300B8 0EE30D66
	v_mfma_f32_16x16x32_fp8_fp8 v[184:187], a[104:105], v[136:137], v[184:187]// 00000000CB10: D3F300B8 0EE31168
	v_mfma_f32_16x16x32_fp8_fp8 v[184:187], a[106:107], v[138:139], v[184:187]// 00000000CB18: D3F300B8 0EE3156A
	v_mfma_f32_16x16x32_fp8_fp8 v[184:187], a[108:109], v[140:141], v[184:187]// 00000000CB20: D3F300B8 0EE3196C
	v_mfma_f32_16x16x32_fp8_fp8 v[184:187], a[110:111], v[142:143], v[184:187]// 00000000CB28: D3F300B8 0EE31D6E
	v_mfma_f32_16x16x32_fp8_fp8 v[188:191], a[112:113], v[128:129], 0// 00000000CB30: D3F300BC 0A030170
	v_mfma_f32_16x16x32_fp8_fp8 v[188:191], a[114:115], v[130:131], v[188:191]// 00000000CB38: D3F300BC 0EF30572
	v_mfma_f32_16x16x32_fp8_fp8 v[188:191], a[116:117], v[132:133], v[188:191]// 00000000CB40: D3F300BC 0EF30974
	v_mfma_f32_16x16x32_fp8_fp8 v[188:191], a[118:119], v[134:135], v[188:191]// 00000000CB48: D3F300BC 0EF30D76
	v_mfma_f32_16x16x32_fp8_fp8 v[188:191], a[120:121], v[136:137], v[188:191]// 00000000CB50: D3F300BC 0EF31178
	v_mfma_f32_16x16x32_fp8_fp8 v[188:191], a[122:123], v[138:139], v[188:191]// 00000000CB58: D3F300BC 0EF3157A
	v_mfma_f32_16x16x32_fp8_fp8 v[188:191], a[124:125], v[140:141], v[188:191]// 00000000CB60: D3F300BC 0EF3197C
	v_mfma_f32_16x16x32_fp8_fp8 v[188:191], a[126:127], v[142:143], v[188:191]// 00000000CB68: D3F300BC 0EF31D7E
	v_add_u32_e32 v1, s56, v1                                  // 00000000CB70: 68020238
	s_addk_i32 s70, 0x100                                      // 00000000CB74: B7460100
	s_cmp_lt_i32 s70, s71                                      // 00000000CB78: BF044746
	s_cbranch_scc0 label_2013                                  // 00000000CB7C: BF84F5B3
	s_branch label_2016                                        // 00000000CB80: BF82F5B5

000000000000cb84 <label_2A61>:
	s_lshr_b32 s60, s71, 4                                     // 00000000CB84: 8F3C8447
	s_cmp_eq_i32 s60, s73                                      // 00000000CB88: BF00493C
	s_cbranch_scc1 label_35EA                                  // 00000000CB8C: BF850B86
	s_lshr_b32 s60, s71, 8                                     // 00000000CB90: 8F3C8847
	s_and_b32 s60, s60, 1                                      // 00000000CB94: 863C813C
	s_cmp_eq_i32 s60, 1                                        // 00000000CB98: BF00813C
	s_cbranch_scc1 label_3029                                  // 00000000CB9C: BF8505C1
	s_waitcnt vmcnt(8) lgkmcnt(0)                              // 00000000CBA0: BF8C0078
	s_barrier                                                  // 00000000CBA4: BF8A0000
	v_mfma_f32_16x16x32_fp8_fp8 v[112:115], a[0:1], v[80:81], 0// 00000000CBA8: D3F30070 0A02A100
	v_mfma_f32_16x16x32_fp8_fp8 v[112:115], a[2:3], v[82:83], v[112:115]// 00000000CBB0: D3F30070 0DC2A502
	v_mfma_f32_16x16x32_fp8_fp8 v[112:115], a[4:5], v[84:85], v[112:115]// 00000000CBB8: D3F30070 0DC2A904
	v_mfma_f32_16x16x32_fp8_fp8 v[112:115], a[6:7], v[86:87], v[112:115]// 00000000CBC0: D3F30070 0DC2AD06
	v_mfma_f32_16x16x32_fp8_fp8 v[116:119], a[8:9], v[80:81], 0// 00000000CBC8: D3F30074 0A02A108
	v_mfma_f32_16x16x32_fp8_fp8 v[116:119], a[10:11], v[82:83], v[116:119]// 00000000CBD0: D3F30074 0DD2A50A
	v_mfma_f32_16x16x32_fp8_fp8 v[116:119], a[12:13], v[84:85], v[116:119]// 00000000CBD8: D3F30074 0DD2A90C
	v_mfma_f32_16x16x32_fp8_fp8 v[116:119], a[14:15], v[86:87], v[116:119]// 00000000CBE0: D3F30074 0DD2AD0E
	v_mfma_f32_16x16x32_fp8_fp8 v[120:123], a[16:17], v[80:81], 0// 00000000CBE8: D3F30078 0A02A110
	v_mfma_f32_16x16x32_fp8_fp8 v[120:123], a[18:19], v[82:83], v[120:123]// 00000000CBF0: D3F30078 0DE2A512
	v_mfma_f32_16x16x32_fp8_fp8 v[120:123], a[20:21], v[84:85], v[120:123]// 00000000CBF8: D3F30078 0DE2A914
	v_mfma_f32_16x16x32_fp8_fp8 v[120:123], a[22:23], v[86:87], v[120:123]// 00000000CC00: D3F30078 0DE2AD16
	v_mfma_f32_16x16x32_fp8_fp8 v[124:127], a[24:25], v[80:81], 0// 00000000CC08: D3F3007C 0A02A118
	v_mfma_f32_16x16x32_fp8_fp8 v[124:127], a[26:27], v[82:83], v[124:127]// 00000000CC10: D3F3007C 0DF2A51A
	v_mfma_f32_16x16x32_fp8_fp8 v[124:127], a[28:29], v[84:85], v[124:127]// 00000000CC18: D3F3007C 0DF2A91C
	v_mfma_f32_16x16x32_fp8_fp8 v[124:127], a[30:31], v[86:87], v[124:127]// 00000000CC20: D3F3007C 0DF2AD1E
	v_mfma_f32_16x16x32_fp8_fp8 v[128:131], a[0:1], v[88:89], 0// 00000000CC28: D3F30080 0A02B100
	v_mfma_f32_16x16x32_fp8_fp8 v[128:131], a[2:3], v[90:91], v[128:131]// 00000000CC30: D3F30080 0E02B502
	v_mfma_f32_16x16x32_fp8_fp8 v[128:131], a[4:5], v[92:93], v[128:131]// 00000000CC38: D3F30080 0E02B904
	v_mfma_f32_16x16x32_fp8_fp8 v[128:131], a[6:7], v[94:95], v[128:131]// 00000000CC40: D3F30080 0E02BD06
	v_mfma_f32_16x16x32_fp8_fp8 v[132:135], a[8:9], v[88:89], 0// 00000000CC48: D3F30084 0A02B108
	v_mfma_f32_16x16x32_fp8_fp8 v[132:135], a[10:11], v[90:91], v[132:135]// 00000000CC50: D3F30084 0E12B50A
	v_mfma_f32_16x16x32_fp8_fp8 v[132:135], a[12:13], v[92:93], v[132:135]// 00000000CC58: D3F30084 0E12B90C
	v_mfma_f32_16x16x32_fp8_fp8 v[132:135], a[14:15], v[94:95], v[132:135]// 00000000CC60: D3F30084 0E12BD0E
	v_mfma_f32_16x16x32_fp8_fp8 v[136:139], a[16:17], v[88:89], 0// 00000000CC68: D3F30088 0A02B110
	v_mfma_f32_16x16x32_fp8_fp8 v[136:139], a[18:19], v[90:91], v[136:139]// 00000000CC70: D3F30088 0E22B512
	v_mfma_f32_16x16x32_fp8_fp8 v[136:139], a[20:21], v[92:93], v[136:139]// 00000000CC78: D3F30088 0E22B914
	v_mfma_f32_16x16x32_fp8_fp8 v[136:139], a[22:23], v[94:95], v[136:139]// 00000000CC80: D3F30088 0E22BD16
	v_mfma_f32_16x16x32_fp8_fp8 v[140:143], a[24:25], v[88:89], 0// 00000000CC88: D3F3008C 0A02B118
	v_mfma_f32_16x16x32_fp8_fp8 v[140:143], a[26:27], v[90:91], v[140:143]// 00000000CC90: D3F3008C 0E32B51A
	v_mfma_f32_16x16x32_fp8_fp8 v[140:143], a[28:29], v[92:93], v[140:143]// 00000000CC98: D3F3008C 0E32B91C
	v_mfma_f32_16x16x32_fp8_fp8 v[140:143], a[30:31], v[94:95], v[140:143]// 00000000CCA0: D3F3008C 0E32BD1E
	v_mov_b32_dpp v64, v42 row_shr:4 row_mask:0xf bank_mask:0xf// 00000000CCA8: 7E8002FA FF01142A
	v_mov_b32_dpp v65, v42 row_shl:4 row_mask:0xf bank_mask:0xf// 00000000CCB0: 7E8202FA FF01042A
	v_cndmask_b32_e64 v248, v42, v64, s[44:45]                 // 00000000CCB8: D10000F8 00B2812A
	v_cndmask_b32_e64 v249, v65, v42, s[44:45]                 // 00000000CCC0: D10000F9 00B25541
	v_mov_b32_dpp v64, v248 row_shr:8 row_mask:0xf bank_mask:0xf// 00000000CCC8: 7E8002FA FF0118F8
	v_mov_b32_dpp v65, v248 row_shl:8 row_mask:0xf bank_mask:0xf// 00000000CCD0: 7E8202FA FF0108F8
	v_mov_b32_dpp v66, v249 row_shr:8 row_mask:0xf bank_mask:0xf// 00000000CCD8: 7E8402FA FF0118F9
	v_mov_b32_dpp v67, v249 row_shl:8 row_mask:0xf bank_mask:0xf// 00000000CCE0: 7E8602FA FF0108F9
	v_mov_b32_e32 v68, v248                                    // 00000000CCE8: 7E8803F8
	v_mov_b32_e32 v69, v249                                    // 00000000CCEC: 7E8A03F9
	v_cndmask_b32_e64 v248, v68, v64, s[42:43]                 // 00000000CCF0: D10000F8 00AA8144
	v_cndmask_b32_e64 v250, v68, v65, s[78:79]                 // 00000000CCF8: D10000FA 013A8344
	v_cndmask_b32_e64 v249, v69, v66, s[42:43]                 // 00000000CD00: D10000F9 00AA8545
	v_cndmask_b32_e64 v251, v69, v67, s[78:79]                 // 00000000CD08: D10000FB 013A8745
	v_mov_b32_dpp v64, v57 row_shr:4 row_mask:0xf bank_mask:0xf// 00000000CD10: 7E8002FA FF011439
	v_mov_b32_dpp v65, v57 row_shl:4 row_mask:0xf bank_mask:0xf// 00000000CD18: 7E8202FA FF010439
	v_cndmask_b32_e64 v252, v57, v64, s[44:45]                 // 00000000CD20: D10000FC 00B28139
	v_cndmask_b32_e64 v253, v65, v57, s[44:45]                 // 00000000CD28: D10000FD 00B27341
	v_mov_b32_dpp v64, v252 row_shr:8 row_mask:0xf bank_mask:0xf// 00000000CD30: 7E8002FA FF0118FC
	v_mov_b32_dpp v65, v252 row_shl:8 row_mask:0xf bank_mask:0xf// 00000000CD38: 7E8202FA FF0108FC
	v_mov_b32_dpp v66, v253 row_shr:8 row_mask:0xf bank_mask:0xf// 00000000CD40: 7E8402FA FF0118FD
	v_mov_b32_dpp v67, v253 row_shl:8 row_mask:0xf bank_mask:0xf// 00000000CD48: 7E8602FA FF0108FD
	v_mov_b32_e32 v68, v252                                    // 00000000CD50: 7E8803FC
	v_mov_b32_e32 v69, v253                                    // 00000000CD54: 7E8A03FD
	v_cndmask_b32_e64 v252, v68, v64, s[42:43]                 // 00000000CD58: D10000FC 00AA8144
	v_cndmask_b32_e64 v254, v68, v65, s[78:79]                 // 00000000CD60: D10000FE 013A8344
	v_cndmask_b32_e64 v253, v69, v66, s[42:43]                 // 00000000CD68: D10000FD 00AA8545
	v_cndmask_b32_e64 v255, v69, v67, s[78:79]                 // 00000000CD70: D10000FF 013A8745
	v_mul_f32_e32 v112, v18, v112                              // 00000000CD78: 0AE0E112
	v_mul_f32_e32 v113, v18, v113                              // 00000000CD7C: 0AE2E312
	v_mul_f32_e32 v114, v18, v114                              // 00000000CD80: 0AE4E512
	v_mul_f32_e32 v115, v18, v115                              // 00000000CD84: 0AE6E712
	v_mul_f32_e32 v116, v18, v116                              // 00000000CD88: 0AE8E912
	v_mul_f32_e32 v117, v18, v117                              // 00000000CD8C: 0AEAEB12
	v_mul_f32_e32 v118, v18, v118                              // 00000000CD90: 0AECED12
	v_mul_f32_e32 v119, v18, v119                              // 00000000CD94: 0AEEEF12
	v_mul_f32_e32 v120, v18, v120                              // 00000000CD98: 0AF0F112
	v_mul_f32_e32 v121, v18, v121                              // 00000000CD9C: 0AF2F312
	v_mul_f32_e32 v122, v18, v122                              // 00000000CDA0: 0AF4F512
	v_mul_f32_e32 v123, v18, v123                              // 00000000CDA4: 0AF6F712
	v_mul_f32_e32 v124, v18, v124                              // 00000000CDA8: 0AF8F912
	v_mul_f32_e32 v125, v18, v125                              // 00000000CDAC: 0AFAFB12
	v_mul_f32_e32 v126, v18, v126                              // 00000000CDB0: 0AFCFD12
	v_mul_f32_e32 v127, v18, v127                              // 00000000CDB4: 0AFEFF12
	v_mul_f32_dpp v112, v248, v112 quad_perm:[0,0,0,0] row_mask:0xf bank_mask:0xf// 00000000CDB8: 0AE0E0FA FF0000F8
	v_mul_f32_dpp v113, v248, v113 quad_perm:[1,1,1,1] row_mask:0xf bank_mask:0xf// 00000000CDC0: 0AE2E2FA FF0055F8
	v_mul_f32_dpp v114, v248, v114 quad_perm:[2,2,2,2] row_mask:0xf bank_mask:0xf// 00000000CDC8: 0AE4E4FA FF00AAF8
	v_mul_f32_dpp v115, v248, v115 quad_perm:[3,3,3,3] row_mask:0xf bank_mask:0xf// 00000000CDD0: 0AE6E6FA FF00FFF8
	v_mul_f32_dpp v116, v249, v116 quad_perm:[0,0,0,0] row_mask:0xf bank_mask:0xf// 00000000CDD8: 0AE8E8FA FF0000F9
	v_mul_f32_dpp v117, v249, v117 quad_perm:[1,1,1,1] row_mask:0xf bank_mask:0xf// 00000000CDE0: 0AEAEAFA FF0055F9
	v_mul_f32_dpp v118, v249, v118 quad_perm:[2,2,2,2] row_mask:0xf bank_mask:0xf// 00000000CDE8: 0AECECFA FF00AAF9
	v_mul_f32_dpp v119, v249, v119 quad_perm:[3,3,3,3] row_mask:0xf bank_mask:0xf// 00000000CDF0: 0AEEEEFA FF00FFF9
	v_mul_f32_dpp v120, v250, v120 quad_perm:[0,0,0,0] row_mask:0xf bank_mask:0xf// 00000000CDF8: 0AF0F0FA FF0000FA
	v_mul_f32_dpp v121, v250, v121 quad_perm:[1,1,1,1] row_mask:0xf bank_mask:0xf// 00000000CE00: 0AF2F2FA FF0055FA
	v_mul_f32_dpp v122, v250, v122 quad_perm:[2,2,2,2] row_mask:0xf bank_mask:0xf// 00000000CE08: 0AF4F4FA FF00AAFA
	v_mul_f32_dpp v123, v250, v123 quad_perm:[3,3,3,3] row_mask:0xf bank_mask:0xf// 00000000CE10: 0AF6F6FA FF00FFFA
	v_mul_f32_dpp v124, v251, v124 quad_perm:[0,0,0,0] row_mask:0xf bank_mask:0xf// 00000000CE18: 0AF8F8FA FF0000FB
	v_mul_f32_dpp v125, v251, v125 quad_perm:[1,1,1,1] row_mask:0xf bank_mask:0xf// 00000000CE20: 0AFAFAFA FF0055FB
	v_mul_f32_dpp v126, v251, v126 quad_perm:[2,2,2,2] row_mask:0xf bank_mask:0xf// 00000000CE28: 0AFCFCFA FF00AAFB
	v_mul_f32_dpp v127, v251, v127 quad_perm:[3,3,3,3] row_mask:0xf bank_mask:0xf// 00000000CE30: 0AFEFEFA FF00FFFB
	s_cmp_le_i32 s90, s89                                      // 00000000CE38: BF05595A
	s_cbranch_scc1 label_2B81                                  // 00000000CE3C: BF850071
	v_mov_b32_e32 v66, 0xff800000                              // 00000000CE40: 7E8402FF FF800000
	s_mov_b32 s60, s90                                         // 00000000CE48: BEBC005A
	s_add_u32 s61, s89, 0xff                                   // 00000000CE4C: 803DFF59 000000FF
	v_mov_b32_e32 v64, s61                                     // 00000000CE54: 7E80023D
	v_lshrrev_b32_e32 v240, 4, v0                              // 00000000CE58: 21E00084
	v_mul_i32_i24_e32 v240, 4, v240                            // 00000000CE5C: 0DE1E084
	v_add_u32_e32 v240, s60, v240                              // 00000000CE60: 69E1E03C
	s_mov_b32 s61, 0                                           // 00000000CE64: BEBD0080
	s_mul_i32 s60, 16, s7                                      // 00000000CE68: 923C0790
	v_sub_u32_e64 v240, v240, s61                              // 00000000CE6C: D13500F0 00007BF0
	v_add_u32_e32 v240, s60, v240                              // 00000000CE74: 69E1E03C
	v_add_u32_e32 v241, 1, v240                                // 00000000CE78: 69E3E081
	v_add_u32_e32 v242, 2, v240                                // 00000000CE7C: 69E5E082
	v_add_u32_e32 v243, 3, v240                                // 00000000CE80: 69E7E083
	v_cmp_le_u32_e64 s[40:41], v240, v64                       // 00000000CE84: D0CB0028 000281F0
	v_add_u32_e32 v240, 64, v240                               // 00000000CE8C: 69E1E0C0
	s_nop 0                                                    // 00000000CE90: BF800000
	v_cndmask_b32_e64 v112, v66, v112, s[40:41]                // 00000000CE94: D1000070 00A2E142
	v_cmp_le_u32_e64 s[40:41], v241, v64                       // 00000000CE9C: D0CB0028 000281F1
	v_add_u32_e32 v241, 64, v241                               // 00000000CEA4: 69E3E2C0
	s_nop 0                                                    // 00000000CEA8: BF800000
	v_cndmask_b32_e64 v113, v66, v113, s[40:41]                // 00000000CEAC: D1000071 00A2E342
	v_cmp_le_u32_e64 s[40:41], v242, v64                       // 00000000CEB4: D0CB0028 000281F2
	v_add_u32_e32 v242, 64, v242                               // 00000000CEBC: 69E5E4C0
	s_nop 0                                                    // 00000000CEC0: BF800000
	v_cndmask_b32_e64 v114, v66, v114, s[40:41]                // 00000000CEC4: D1000072 00A2E542
	v_cmp_le_u32_e64 s[40:41], v243, v64                       // 00000000CECC: D0CB0028 000281F3
	v_add_u32_e32 v243, 64, v243                               // 00000000CED4: 69E7E6C0
	s_nop 0                                                    // 00000000CED8: BF800000
	v_cndmask_b32_e64 v115, v66, v115, s[40:41]                // 00000000CEDC: D1000073 00A2E742
	v_cmp_le_u32_e64 s[40:41], v240, v64                       // 00000000CEE4: D0CB0028 000281F0
	v_add_u32_e32 v240, 64, v240                               // 00000000CEEC: 69E1E0C0
	s_nop 0                                                    // 00000000CEF0: BF800000
	v_cndmask_b32_e64 v116, v66, v116, s[40:41]                // 00000000CEF4: D1000074 00A2E942
	v_cmp_le_u32_e64 s[40:41], v241, v64                       // 00000000CEFC: D0CB0028 000281F1
	v_add_u32_e32 v241, 64, v241                               // 00000000CF04: 69E3E2C0
	s_nop 0                                                    // 00000000CF08: BF800000
	v_cndmask_b32_e64 v117, v66, v117, s[40:41]                // 00000000CF0C: D1000075 00A2EB42
	v_cmp_le_u32_e64 s[40:41], v242, v64                       // 00000000CF14: D0CB0028 000281F2
	v_add_u32_e32 v242, 64, v242                               // 00000000CF1C: 69E5E4C0
	s_nop 0                                                    // 00000000CF20: BF800000
	v_cndmask_b32_e64 v118, v66, v118, s[40:41]                // 00000000CF24: D1000076 00A2ED42
	v_cmp_le_u32_e64 s[40:41], v243, v64                       // 00000000CF2C: D0CB0028 000281F3
	v_add_u32_e32 v243, 64, v243                               // 00000000CF34: 69E7E6C0
	s_nop 0                                                    // 00000000CF38: BF800000
	v_cndmask_b32_e64 v119, v66, v119, s[40:41]                // 00000000CF3C: D1000077 00A2EF42
	v_cmp_le_u32_e64 s[40:41], v240, v64                       // 00000000CF44: D0CB0028 000281F0
	v_add_u32_e32 v240, 64, v240                               // 00000000CF4C: 69E1E0C0
	s_nop 0                                                    // 00000000CF50: BF800000
	v_cndmask_b32_e64 v120, v66, v120, s[40:41]                // 00000000CF54: D1000078 00A2F142
	v_cmp_le_u32_e64 s[40:41], v241, v64                       // 00000000CF5C: D0CB0028 000281F1
	v_add_u32_e32 v241, 64, v241                               // 00000000CF64: 69E3E2C0
	s_nop 0                                                    // 00000000CF68: BF800000
	v_cndmask_b32_e64 v121, v66, v121, s[40:41]                // 00000000CF6C: D1000079 00A2F342
	v_cmp_le_u32_e64 s[40:41], v242, v64                       // 00000000CF74: D0CB0028 000281F2
	v_add_u32_e32 v242, 64, v242                               // 00000000CF7C: 69E5E4C0
	s_nop 0                                                    // 00000000CF80: BF800000
	v_cndmask_b32_e64 v122, v66, v122, s[40:41]                // 00000000CF84: D100007A 00A2F542
	v_cmp_le_u32_e64 s[40:41], v243, v64                       // 00000000CF8C: D0CB0028 000281F3
	v_add_u32_e32 v243, 64, v243                               // 00000000CF94: 69E7E6C0
	s_nop 0                                                    // 00000000CF98: BF800000
	v_cndmask_b32_e64 v123, v66, v123, s[40:41]                // 00000000CF9C: D100007B 00A2F742
	v_cmp_le_u32_e64 s[40:41], v240, v64                       // 00000000CFA4: D0CB0028 000281F0
	v_add_u32_e32 v240, 64, v240                               // 00000000CFAC: 69E1E0C0
	s_nop 0                                                    // 00000000CFB0: BF800000
	v_cndmask_b32_e64 v124, v66, v124, s[40:41]                // 00000000CFB4: D100007C 00A2F942
	v_cmp_le_u32_e64 s[40:41], v241, v64                       // 00000000CFBC: D0CB0028 000281F1
	v_add_u32_e32 v241, 64, v241                               // 00000000CFC4: 69E3E2C0
	s_nop 0                                                    // 00000000CFC8: BF800000
	v_cndmask_b32_e64 v125, v66, v125, s[40:41]                // 00000000CFCC: D100007D 00A2FB42
	v_cmp_le_u32_e64 s[40:41], v242, v64                       // 00000000CFD4: D0CB0028 000281F2
	v_add_u32_e32 v242, 64, v242                               // 00000000CFDC: 69E5E4C0
	s_nop 0                                                    // 00000000CFE0: BF800000
	v_cndmask_b32_e64 v126, v66, v126, s[40:41]                // 00000000CFE4: D100007E 00A2FD42
	v_cmp_le_u32_e64 s[40:41], v243, v64                       // 00000000CFEC: D0CB0028 000281F3
	v_add_u32_e32 v243, 64, v243                               // 00000000CFF4: 69E7E6C0
	s_nop 0                                                    // 00000000CFF8: BF800000
	v_cndmask_b32_e64 v127, v66, v127, s[40:41]                // 00000000CFFC: D100007F 00A2FF42

000000000000d004 <label_2B81>:
	s_and_b32 s60, s72, 0xff                                   // 00000000D004: 863CFF48 000000FF
	v_mov_b32_e32 v65, s60                                     // 00000000D00C: 7E82023C
	v_lshrrev_b32_e32 v240, 4, v0                              // 00000000D010: 21E00084
	v_mul_i32_i24_e32 v240, 4, v240                            // 00000000D014: 0DE1E084
	s_mul_i32 s60, s7, 16                                      // 00000000D018: 923C9007
	v_add_u32_e32 v240, s60, v240                              // 00000000D01C: 69E1E03C
	v_add_u32_e32 v241, 1, v240                                // 00000000D020: 69E3E081
	v_add_u32_e32 v242, 2, v240                                // 00000000D024: 69E5E082
	v_add_u32_e32 v243, 3, v240                                // 00000000D028: 69E7E083
	v_mov_b32_e32 v64, 0xff800000                              // 00000000D02C: 7E8002FF FF800000
	v_cmp_lt_u32_e64 s[40:41], v240, v65                       // 00000000D034: D0C90028 000283F0
	v_add_u32_e32 v240, 64, v240                               // 00000000D03C: 69E1E0C0
	s_nop 0                                                    // 00000000D040: BF800000
	v_cndmask_b32_e64 v112, v64, v112, s[40:41]                // 00000000D044: D1000070 00A2E140
	v_cmp_lt_u32_e64 s[40:41], v241, v65                       // 00000000D04C: D0C90028 000283F1
	v_add_u32_e32 v241, 64, v241                               // 00000000D054: 69E3E2C0
	s_nop 0                                                    // 00000000D058: BF800000
	v_cndmask_b32_e64 v113, v64, v113, s[40:41]                // 00000000D05C: D1000071 00A2E340
	v_cmp_lt_u32_e64 s[40:41], v242, v65                       // 00000000D064: D0C90028 000283F2
	v_add_u32_e32 v242, 64, v242                               // 00000000D06C: 69E5E4C0
	s_nop 0                                                    // 00000000D070: BF800000
	v_cndmask_b32_e64 v114, v64, v114, s[40:41]                // 00000000D074: D1000072 00A2E540
	v_cmp_lt_u32_e64 s[40:41], v243, v65                       // 00000000D07C: D0C90028 000283F3
	v_add_u32_e32 v243, 64, v243                               // 00000000D084: 69E7E6C0
	s_nop 0                                                    // 00000000D088: BF800000
	v_cndmask_b32_e64 v115, v64, v115, s[40:41]                // 00000000D08C: D1000073 00A2E740
	v_cmp_lt_u32_e64 s[40:41], v240, v65                       // 00000000D094: D0C90028 000283F0
	v_add_u32_e32 v240, 64, v240                               // 00000000D09C: 69E1E0C0
	s_nop 0                                                    // 00000000D0A0: BF800000
	v_cndmask_b32_e64 v116, v64, v116, s[40:41]                // 00000000D0A4: D1000074 00A2E940
	v_cmp_lt_u32_e64 s[40:41], v241, v65                       // 00000000D0AC: D0C90028 000283F1
	v_add_u32_e32 v241, 64, v241                               // 00000000D0B4: 69E3E2C0
	s_nop 0                                                    // 00000000D0B8: BF800000
	v_cndmask_b32_e64 v117, v64, v117, s[40:41]                // 00000000D0BC: D1000075 00A2EB40
	v_cmp_lt_u32_e64 s[40:41], v242, v65                       // 00000000D0C4: D0C90028 000283F2
	v_add_u32_e32 v242, 64, v242                               // 00000000D0CC: 69E5E4C0
	s_nop 0                                                    // 00000000D0D0: BF800000
	v_cndmask_b32_e64 v118, v64, v118, s[40:41]                // 00000000D0D4: D1000076 00A2ED40
	v_cmp_lt_u32_e64 s[40:41], v243, v65                       // 00000000D0DC: D0C90028 000283F3
	v_add_u32_e32 v243, 64, v243                               // 00000000D0E4: 69E7E6C0
	s_nop 0                                                    // 00000000D0E8: BF800000
	v_cndmask_b32_e64 v119, v64, v119, s[40:41]                // 00000000D0EC: D1000077 00A2EF40
	v_cmp_lt_u32_e64 s[40:41], v240, v65                       // 00000000D0F4: D0C90028 000283F0
	v_add_u32_e32 v240, 64, v240                               // 00000000D0FC: 69E1E0C0
	s_nop 0                                                    // 00000000D100: BF800000
	v_cndmask_b32_e64 v120, v64, v120, s[40:41]                // 00000000D104: D1000078 00A2F140
	v_cmp_lt_u32_e64 s[40:41], v241, v65                       // 00000000D10C: D0C90028 000283F1
	v_add_u32_e32 v241, 64, v241                               // 00000000D114: 69E3E2C0
	s_nop 0                                                    // 00000000D118: BF800000
	v_cndmask_b32_e64 v121, v64, v121, s[40:41]                // 00000000D11C: D1000079 00A2F340
	v_cmp_lt_u32_e64 s[40:41], v242, v65                       // 00000000D124: D0C90028 000283F2
	v_add_u32_e32 v242, 64, v242                               // 00000000D12C: 69E5E4C0
	s_nop 0                                                    // 00000000D130: BF800000
	v_cndmask_b32_e64 v122, v64, v122, s[40:41]                // 00000000D134: D100007A 00A2F540
	v_cmp_lt_u32_e64 s[40:41], v243, v65                       // 00000000D13C: D0C90028 000283F3
	v_add_u32_e32 v243, 64, v243                               // 00000000D144: 69E7E6C0
	s_nop 0                                                    // 00000000D148: BF800000
	v_cndmask_b32_e64 v123, v64, v123, s[40:41]                // 00000000D14C: D100007B 00A2F740
	v_cmp_lt_u32_e64 s[40:41], v240, v65                       // 00000000D154: D0C90028 000283F0
	v_add_u32_e32 v240, 64, v240                               // 00000000D15C: 69E1E0C0
	s_nop 0                                                    // 00000000D160: BF800000
	v_cndmask_b32_e64 v124, v64, v124, s[40:41]                // 00000000D164: D100007C 00A2F940
	v_cmp_lt_u32_e64 s[40:41], v241, v65                       // 00000000D16C: D0C90028 000283F1
	v_add_u32_e32 v241, 64, v241                               // 00000000D174: 69E3E2C0
	s_nop 0                                                    // 00000000D178: BF800000
	v_cndmask_b32_e64 v125, v64, v125, s[40:41]                // 00000000D17C: D100007D 00A2FB40
	v_cmp_lt_u32_e64 s[40:41], v242, v65                       // 00000000D184: D0C90028 000283F2
	v_add_u32_e32 v242, 64, v242                               // 00000000D18C: 69E5E4C0
	s_nop 0                                                    // 00000000D190: BF800000
	v_cndmask_b32_e64 v126, v64, v126, s[40:41]                // 00000000D194: D100007E 00A2FD40
	v_cmp_lt_u32_e64 s[40:41], v243, v65                       // 00000000D19C: D0C90028 000283F3
	v_add_u32_e32 v243, 64, v243                               // 00000000D1A4: 69E7E6C0
	s_nop 0                                                    // 00000000D1A8: BF800000
	v_cndmask_b32_e64 v127, v64, v127, s[40:41]                // 00000000D1AC: D100007F 00A2FF40
	v_mov_b32_e32 v48, v112                                    // 00000000D1B4: 7E600370
	v_max3_f32 v48, v112, v113, v48                            // 00000000D1B8: D1D30030 04C2E370
	v_max3_f32 v48, v114, v115, v48                            // 00000000D1C0: D1D30030 04C2E772
	v_max3_f32 v48, v116, v117, v48                            // 00000000D1C8: D1D30030 04C2EB74
	v_max3_f32 v48, v118, v119, v48                            // 00000000D1D0: D1D30030 04C2EF76
	v_max3_f32 v48, v120, v121, v48                            // 00000000D1D8: D1D30030 04C2F378
	v_max3_f32 v48, v122, v123, v48                            // 00000000D1E0: D1D30030 04C2F77A
	v_max3_f32 v48, v124, v125, v48                            // 00000000D1E8: D1D30030 04C2FB7C
	v_max3_f32 v48, v126, v127, v48                            // 00000000D1F0: D1D30030 04C2FF7E
	ds_write_b32 v8, v48 offset:16896                          // 00000000D1F8: D81A4200 00003008
	v_mul_u32_u24_dpp v64, v17, v54 row_newbcast:1 row_mask:0xf bank_mask:0xf// 00000000D200: 10806CFA FF015111
	v_mul_u32_u24_dpp v65, v17, v54 row_newbcast:5 row_mask:0xf bank_mask:0xf// 00000000D208: 10826CFA FF015511
	v_mul_u32_u24_dpp v66, v17, v54 row_newbcast:9 row_mask:0xf bank_mask:0xf// 00000000D210: 10846CFA FF015911
	v_mul_u32_u24_dpp v67, v17, v54 row_newbcast:13 row_mask:0xf bank_mask:0xf// 00000000D218: 10866CFA FF015D11
	v_add_u32_e32 v34, v64, v6                                 // 00000000D220: 68440D40
	v_add_u32_e32 v35, v65, v6                                 // 00000000D224: 68460D41
	v_add_u32_e32 v36, v66, v6                                 // 00000000D228: 68480D42
	v_add_u32_e32 v37, v67, v6                                 // 00000000D22C: 684A0D43
	v_mul_f32_e32 v208, v49, v208                              // 00000000D230: 0BA1A131
	v_mul_f32_e32 v209, v49, v209                              // 00000000D234: 0BA3A331
	v_mul_f32_e32 v210, v49, v210                              // 00000000D238: 0BA5A531
	v_mul_f32_e32 v211, v49, v211                              // 00000000D23C: 0BA7A731
	v_mul_f32_e32 v212, v49, v212                              // 00000000D240: 0BA9A931
	v_mul_f32_e32 v213, v49, v213                              // 00000000D244: 0BABAB31
	v_mul_f32_e32 v214, v49, v214                              // 00000000D248: 0BADAD31
	v_mul_f32_e32 v215, v49, v215                              // 00000000D24C: 0BAFAF31
	s_waitcnt lgkmcnt(0)                                       // 00000000D250: BF8CC07F
	s_barrier                                                  // 00000000D254: BF8A0000
	ds_read_b32 v64, v7 offset:16896                           // 00000000D258: D86C4200 40000007
	ds_read_b32 v65, v7 offset:16960                           // 00000000D260: D86C4240 41000007
	ds_read_b32 v66, v7 offset:17024                           // 00000000D268: D86C4280 42000007
	ds_read_b32 v67, v7 offset:17088                           // 00000000D270: D86C42C0 43000007
	ds_read_b32 v68, v7 offset:17152                           // 00000000D278: D86C4300 44000007
	ds_read_b32 v69, v7 offset:17216                           // 00000000D280: D86C4340 45000007
	ds_read_b32 v70, v7 offset:17280                           // 00000000D288: D86C4380 46000007
	ds_read_b32 v71, v7 offset:17344                           // 00000000D290: D86C43C0 47000007
	ds_read_b32 v72, v7 offset:17408                           // 00000000D298: D86C4400 48000007
	ds_read_b32 v73, v7 offset:17472                           // 00000000D2A0: D86C4440 49000007
	ds_read_b32 v74, v7 offset:17536                           // 00000000D2A8: D86C4480 4A000007
	ds_read_b32 v75, v7 offset:17600                           // 00000000D2B0: D86C44C0 4B000007
	ds_read_b32 v76, v7 offset:17664                           // 00000000D2B8: D86C4500 4C000007
	ds_read_b32 v77, v7 offset:17728                           // 00000000D2C0: D86C4540 4D000007
	ds_read_b32 v78, v7 offset:17792                           // 00000000D2C8: D86C4580 4E000007
	ds_read_b32 v79, v7 offset:17856                           // 00000000D2D0: D86C45C0 4F000007
	v_mul_f32_e32 v176, v44, v176                              // 00000000D2D8: 0B61612C
	v_mul_f32_e32 v177, v44, v177                              // 00000000D2DC: 0B63632C
	v_mul_f32_e32 v178, v44, v178                              // 00000000D2E0: 0B65652C
	v_mul_f32_e32 v179, v44, v179                              // 00000000D2E4: 0B67672C
	v_mul_f32_e32 v180, v44, v180                              // 00000000D2E8: 0B69692C
	v_mul_f32_e32 v181, v44, v181                              // 00000000D2EC: 0B6B6B2C
	v_mul_f32_e32 v182, v44, v182                              // 00000000D2F0: 0B6D6D2C
	v_mul_f32_e32 v183, v44, v183                              // 00000000D2F4: 0B6F6F2C
	s_waitcnt lgkmcnt(0)                                       // 00000000D2F8: BF8CC07F
	v_max3_f32 v48, v64, v65, v48                              // 00000000D2FC: D1D30030 04C28340
	v_max3_f32 v48, v66, v67, v48                              // 00000000D304: D1D30030 04C28742
	v_max3_f32 v48, v68, v69, v48                              // 00000000D30C: D1D30030 04C28B44
	v_max3_f32 v48, v70, v71, v48                              // 00000000D314: D1D30030 04C28F46
	v_max3_f32 v48, v72, v73, v48                              // 00000000D31C: D1D30030 04C29348
	v_max3_f32 v48, v74, v75, v48                              // 00000000D324: D1D30030 04C2974A
	v_max3_f32 v48, v76, v77, v48                              // 00000000D32C: D1D30030 04C29B4C
	v_max3_f32 v48, v78, v79, v48                              // 00000000D334: D1D30030 04C29F4E
	v_mov_b32_e32 v64, 0xff800000                              // 00000000D33C: 7E8002FF FF800000
	v_cmp_eq_u32_e64 s[40:41], v64, v11                        // 00000000D344: D0CA0028 00021740
	s_nop 1                                                    // 00000000D34C: BF800001
	v_max_f32_e32 v15, v48, v11                                // 00000000D350: 161E1730
	v_mul_f32_e32 v53, s64, v15                                // 00000000D354: 0A6A1E40
	v_fma_f32 v112, v112, s64, -v53                            // 00000000D358: D1CB0070 84D48170
	v_fma_f32 v113, v113, s64, -v53                            // 00000000D360: D1CB0071 84D48171
	v_fma_f32 v114, v114, s64, -v53                            // 00000000D368: D1CB0072 84D48172
	v_fma_f32 v115, v115, s64, -v53                            // 00000000D370: D1CB0073 84D48173
	v_fma_f32 v116, v116, s64, -v53                            // 00000000D378: D1CB0074 84D48174
	v_fma_f32 v117, v117, s64, -v53                            // 00000000D380: D1CB0075 84D48175
	v_fma_f32 v118, v118, s64, -v53                            // 00000000D388: D1CB0076 84D48176
	v_fma_f32 v119, v119, s64, -v53                            // 00000000D390: D1CB0077 84D48177
	v_fma_f32 v120, v120, s64, -v53                            // 00000000D398: D1CB0078 84D48178
	v_fma_f32 v121, v121, s64, -v53                            // 00000000D3A0: D1CB0079 84D48179
	v_fma_f32 v122, v122, s64, -v53                            // 00000000D3A8: D1CB007A 84D4817A
	v_fma_f32 v123, v123, s64, -v53                            // 00000000D3B0: D1CB007B 84D4817B
	v_fma_f32 v124, v124, s64, -v53                            // 00000000D3B8: D1CB007C 84D4817C
	v_fma_f32 v125, v125, s64, -v53                            // 00000000D3C0: D1CB007D 84D4817D
	v_fma_f32 v126, v126, s64, -v53                            // 00000000D3C8: D1CB007E 84D4817E
	v_fma_f32 v127, v127, s64, -v53                            // 00000000D3D0: D1CB007F 84D4817F
	v_exp_f32_e32 v112, v112                                   // 00000000D3D8: 7EE04170
	v_exp_f32_e32 v113, v113                                   // 00000000D3DC: 7EE24171
	v_exp_f32_e32 v114, v114                                   // 00000000D3E0: 7EE44172
	v_exp_f32_e32 v115, v115                                   // 00000000D3E4: 7EE64173
	v_exp_f32_e32 v116, v116                                   // 00000000D3E8: 7EE84174
	v_exp_f32_e32 v117, v117                                   // 00000000D3EC: 7EEA4175
	v_exp_f32_e32 v118, v118                                   // 00000000D3F0: 7EEC4176
	v_exp_f32_e32 v119, v119                                   // 00000000D3F4: 7EEE4177
	v_exp_f32_e32 v120, v120                                   // 00000000D3F8: 7EF04178
	v_exp_f32_e32 v121, v121                                   // 00000000D3FC: 7EF24179
	v_exp_f32_e32 v122, v122                                   // 00000000D400: 7EF4417A
	v_exp_f32_e32 v123, v123                                   // 00000000D404: 7EF6417B
	v_exp_f32_e32 v124, v124                                   // 00000000D408: 7EF8417C
	v_exp_f32_e32 v125, v125                                   // 00000000D40C: 7EFA417D
	v_exp_f32_e32 v126, v126                                   // 00000000D410: 7EFC417E
	v_exp_f32_e32 v127, v127                                   // 00000000D414: 7EFE417F
	v_mul_f32_dpp v240, v252, v112 quad_perm:[0,0,0,0] row_mask:0xf bank_mask:0xf// 00000000D418: 0BE0E0FA FF0000FC
	v_mul_f32_dpp v241, v252, v113 quad_perm:[1,1,1,1] row_mask:0xf bank_mask:0xf// 00000000D420: 0BE2E2FA FF0055FC
	v_mul_f32_dpp v242, v252, v114 quad_perm:[2,2,2,2] row_mask:0xf bank_mask:0xf// 00000000D428: 0BE4E4FA FF00AAFC
	v_mul_f32_dpp v243, v252, v115 quad_perm:[3,3,3,3] row_mask:0xf bank_mask:0xf// 00000000D430: 0BE6E6FA FF00FFFC
	v_mul_f32_dpp v244, v253, v116 quad_perm:[0,0,0,0] row_mask:0xf bank_mask:0xf// 00000000D438: 0BE8E8FA FF0000FD
	v_mul_f32_dpp v245, v253, v117 quad_perm:[1,1,1,1] row_mask:0xf bank_mask:0xf// 00000000D440: 0BEAEAFA FF0055FD
	v_mul_f32_dpp v246, v253, v118 quad_perm:[2,2,2,2] row_mask:0xf bank_mask:0xf// 00000000D448: 0BECECFA FF00AAFD
	v_mul_f32_dpp v247, v253, v119 quad_perm:[3,3,3,3] row_mask:0xf bank_mask:0xf// 00000000D450: 0BEEEEFA FF00FFFD
	v_mul_f32_dpp v248, v254, v120 quad_perm:[0,0,0,0] row_mask:0xf bank_mask:0xf// 00000000D458: 0BF0F0FA FF0000FE
	v_mul_f32_dpp v249, v254, v121 quad_perm:[1,1,1,1] row_mask:0xf bank_mask:0xf// 00000000D460: 0BF2F2FA FF0055FE
	v_mul_f32_dpp v250, v254, v122 quad_perm:[2,2,2,2] row_mask:0xf bank_mask:0xf// 00000000D468: 0BF4F4FA FF00AAFE
	v_mul_f32_dpp v251, v254, v123 quad_perm:[3,3,3,3] row_mask:0xf bank_mask:0xf// 00000000D470: 0BF6F6FA FF00FFFE
	v_mul_f32_dpp v252, v255, v124 quad_perm:[0,0,0,0] row_mask:0xf bank_mask:0xf// 00000000D478: 0BF8F8FA FF0000FF
	v_mul_f32_dpp v253, v255, v125 quad_perm:[1,1,1,1] row_mask:0xf bank_mask:0xf// 00000000D480: 0BFAFAFA FF0055FF
	v_mul_f32_dpp v254, v255, v126 quad_perm:[2,2,2,2] row_mask:0xf bank_mask:0xf// 00000000D488: 0BFCFCFA FF00AAFF
	v_mul_f32_dpp v255, v255, v127 quad_perm:[3,3,3,3] row_mask:0xf bank_mask:0xf// 00000000D490: 0BFEFEFA FF00FFFF
	v_mov_b32_e32 v48, 0x358637bd                              // 00000000D498: 7E6002FF 358637BD
	v_max3_f32 v48, |v240|, |v241|, v48                        // 00000000D4A0: D1D30330 04C3E3F0
	v_max3_f32 v48, |v242|, |v243|, v48                        // 00000000D4A8: D1D30330 04C3E7F2
	v_max3_f32 v48, |v244|, |v245|, v48                        // 00000000D4B0: D1D30330 04C3EBF4
	v_max3_f32 v48, |v246|, |v247|, v48                        // 00000000D4B8: D1D30330 04C3EFF6
	v_max3_f32 v48, |v248|, |v249|, v48                        // 00000000D4C0: D1D30330 04C3F3F8
	v_max3_f32 v48, |v250|, |v251|, v48                        // 00000000D4C8: D1D30330 04C3F7FA
	v_max3_f32 v48, |v252|, |v253|, v48                        // 00000000D4D0: D1D30330 04C3FBFC
	v_max3_f32 v48, |v254|, |v255|, v48                        // 00000000D4D8: D1D30330 04C3FFFE
	ds_write_b32 v8, v48 offset:20992                          // 00000000D4E0: D81A5200 00003008
	v_sub_f32_e32 v49, v11, v15                                // 00000000D4E8: 04621F0B
	v_cndmask_b32_e64 v49, v49, 0, s[40:41]                    // 00000000D4EC: D1000031 00A10131
	v_mov_b32_e32 v11, v15                                     // 00000000D4F4: 7E16030F
	v_mul_f32_e32 v49, s64, v49                                // 00000000D4F8: 0A626240
	v_exp_f32_e32 v49, v49                                     // 00000000D4FC: 7E624131
	s_waitcnt lgkmcnt(0)                                       // 00000000D500: BF8CC07F
	s_barrier                                                  // 00000000D504: BF8A0000
	ds_read_b32 v64, v7 offset:20992                           // 00000000D508: D86C5200 40000007
	ds_read_b32 v65, v7 offset:21056                           // 00000000D510: D86C5240 41000007
	ds_read_b32 v66, v7 offset:21120                           // 00000000D518: D86C5280 42000007
	ds_read_b32 v67, v7 offset:21184                           // 00000000D520: D86C52C0 43000007
	ds_read_b32 v68, v7 offset:21248                           // 00000000D528: D86C5300 44000007
	ds_read_b32 v69, v7 offset:21312                           // 00000000D530: D86C5340 45000007
	ds_read_b32 v70, v7 offset:21376                           // 00000000D538: D86C5380 46000007
	ds_read_b32 v71, v7 offset:21440                           // 00000000D540: D86C53C0 47000007
	ds_read_b32 v72, v7 offset:21504                           // 00000000D548: D86C5400 48000007
	ds_read_b32 v73, v7 offset:21568                           // 00000000D550: D86C5440 49000007
	ds_read_b32 v74, v7 offset:21632                           // 00000000D558: D86C5480 4A000007
	ds_read_b32 v75, v7 offset:21696                           // 00000000D560: D86C54C0 4B000007
	ds_read_b32 v76, v7 offset:21760                           // 00000000D568: D86C5500 4C000007
	ds_read_b32 v77, v7 offset:21824                           // 00000000D570: D86C5540 4D000007
	ds_read_b32 v78, v7 offset:21888                           // 00000000D578: D86C5580 4E000007
	ds_read_b32 v79, v7 offset:21952                           // 00000000D580: D86C55C0 4F000007
	v_mul_f32_e32 v38, v49, v38                                // 00000000D588: 0A4C4D31
	v_mov_b32_e32 v15, v112                                    // 00000000D58C: 7E1E0370
	v_add_f32_e32 v15, v113, v15                               // 00000000D590: 021E1F71
	v_add_f32_e32 v15, v114, v15                               // 00000000D594: 021E1F72
	v_add_f32_e32 v15, v115, v15                               // 00000000D598: 021E1F73
	v_add_f32_e32 v15, v116, v15                               // 00000000D59C: 021E1F74
	v_add_f32_e32 v15, v117, v15                               // 00000000D5A0: 021E1F75
	v_add_f32_e32 v15, v118, v15                               // 00000000D5A4: 021E1F76
	v_add_f32_e32 v15, v119, v15                               // 00000000D5A8: 021E1F77
	v_add_f32_e32 v15, v120, v15                               // 00000000D5AC: 021E1F78
	v_add_f32_e32 v15, v121, v15                               // 00000000D5B0: 021E1F79
	v_add_f32_e32 v15, v122, v15                               // 00000000D5B4: 021E1F7A
	v_add_f32_e32 v15, v123, v15                               // 00000000D5B8: 021E1F7B
	v_add_f32_e32 v15, v124, v15                               // 00000000D5BC: 021E1F7C
	v_add_f32_e32 v15, v125, v15                               // 00000000D5C0: 021E1F7D
	v_add_f32_e32 v15, v126, v15                               // 00000000D5C4: 021E1F7E
	v_add_f32_e32 v15, v127, v15                               // 00000000D5C8: 021E1F7F
	v_add_f32_e32 v38, v15, v38                                // 00000000D5CC: 024C4D0F
	s_waitcnt lgkmcnt(0)                                       // 00000000D5D0: BF8CC07F
	v_max3_f32 v48, |v64|, |v65|, v48                          // 00000000D5D4: D1D30330 04C28340
	v_max3_f32 v48, |v66|, |v67|, v48                          // 00000000D5DC: D1D30330 04C28742
	v_max3_f32 v48, |v68|, |v69|, v48                          // 00000000D5E4: D1D30330 04C28B44
	v_max3_f32 v48, |v70|, |v71|, v48                          // 00000000D5EC: D1D30330 04C28F46
	v_max3_f32 v48, |v72|, |v73|, v48                          // 00000000D5F4: D1D30330 04C29348
	v_max3_f32 v48, |v74|, |v75|, v48                          // 00000000D5FC: D1D30330 04C2974A
	v_max3_f32 v48, |v76|, |v77|, v48                          // 00000000D604: D1D30330 04C29B4C
	v_max3_f32 v48, |v78|, |v79|, v48                          // 00000000D60C: D1D30330 04C29F4E
	s_nop 2                                                    // 00000000D614: BF800002
	v_rcp_f32_e32 v48, v48                                     // 00000000D618: 7E604530
	s_nop 1                                                    // 00000000D61C: BF800001
	v_mul_f32_e32 v48, 0x43700000, v48                         // 00000000D620: 0A6060FF 43700000
	v_mul_f32_e32 v112, v48, v240                              // 00000000D628: 0AE1E130
	v_mul_f32_e32 v113, v48, v241                              // 00000000D62C: 0AE3E330
	v_mul_f32_e32 v114, v48, v242                              // 00000000D630: 0AE5E530
	v_mul_f32_e32 v115, v48, v243                              // 00000000D634: 0AE7E730
	v_mul_f32_e32 v116, v48, v244                              // 00000000D638: 0AE9E930
	v_mul_f32_e32 v117, v48, v245                              // 00000000D63C: 0AEBEB30
	v_mul_f32_e32 v118, v48, v246                              // 00000000D640: 0AEDED30
	v_mul_f32_e32 v119, v48, v247                              // 00000000D644: 0AEFEF30
	v_mul_f32_e32 v120, v48, v248                              // 00000000D648: 0AF1F130
	v_mul_f32_e32 v121, v48, v249                              // 00000000D64C: 0AF3F330
	v_mul_f32_e32 v122, v48, v250                              // 00000000D650: 0AF5F530
	v_mul_f32_e32 v123, v48, v251                              // 00000000D654: 0AF7F730
	v_mul_f32_e32 v124, v48, v252                              // 00000000D658: 0AF9F930
	v_mul_f32_e32 v125, v48, v253                              // 00000000D65C: 0AFBFB30
	v_mul_f32_e32 v126, v48, v254                              // 00000000D660: 0AFDFD30
	v_mul_f32_e32 v127, v48, v255                              // 00000000D664: 0AFFFF30
	v_cvt_pk_fp8_f32 v112, v112, v113                          // 00000000D668: D2A20070 0002E370
	v_cvt_pk_fp8_f32 v112, v114, v115 op_sel:[0,0,1]           // 00000000D670: D2A24070 0002E772
	v_cvt_pk_fp8_f32 v113, v116, v117                          // 00000000D678: D2A20071 0002EB74
	v_cvt_pk_fp8_f32 v113, v118, v119 op_sel:[0,0,1]           // 00000000D680: D2A24071 0002EF76
	v_cvt_pk_fp8_f32 v114, v120, v121                          // 00000000D688: D2A20072 0002F378
	v_cvt_pk_fp8_f32 v114, v122, v123 op_sel:[0,0,1]           // 00000000D690: D2A24072 0002F77A
	v_cvt_pk_fp8_f32 v115, v124, v125                          // 00000000D698: D2A20073 0002FB7C
	v_cvt_pk_fp8_f32 v115, v126, v127 op_sel:[0,0,1]           // 00000000D6A0: D2A24073 0002FF7E
	ds_write_b32 v10, v112 offset:25088                        // 00000000D6A8: D81A6200 0000700A
	ds_write_b32 v10, v113 offset:26112                        // 00000000D6B0: D81A6600 0000710A
	ds_write_b32 v10, v114 offset:27136                        // 00000000D6B8: D81A6A00 0000720A
	ds_write_b32 v10, v115 offset:28160                        // 00000000D6C0: D81A6E00 0000730A
	v_add_f32_e32 v208, v208, v176                             // 00000000D6C8: 03A161D0
	v_add_f32_e32 v209, v209, v177                             // 00000000D6CC: 03A363D1
	v_add_f32_e32 v210, v210, v178                             // 00000000D6D0: 03A565D2
	v_add_f32_e32 v211, v211, v179                             // 00000000D6D4: 03A767D3
	v_add_f32_e32 v212, v212, v180                             // 00000000D6D8: 03A969D4
	v_add_f32_e32 v213, v213, v181                             // 00000000D6DC: 03AB6BD5
	v_add_f32_e32 v214, v214, v182                             // 00000000D6E0: 03AD6DD6
	v_add_f32_e32 v215, v215, v183                             // 00000000D6E4: 03AF6FD7
	v_rcp_f32_e32 v44, v48                                     // 00000000D6E8: 7E584530
	s_waitcnt lgkmcnt(0)                                       // 00000000D6EC: BF8CC07F
	s_barrier                                                  // 00000000D6F0: BF8A0000
	ds_read_b64 v[112:113], v9 offset:25088                    // 00000000D6F4: D8EC6200 70000009
	ds_read_b64 v[114:115], v9 offset:25216                    // 00000000D6FC: D8EC6280 72000009
	ds_read_b64 v[116:117], v9 offset:26112                    // 00000000D704: D8EC6600 74000009
	ds_read_b64 v[118:119], v9 offset:26240                    // 00000000D70C: D8EC6680 76000009
	ds_read_b64 v[120:121], v9 offset:27136                    // 00000000D714: D8EC6A00 78000009
	ds_read_b64 v[122:123], v9 offset:27264                    // 00000000D71C: D8EC6A80 7A000009
	ds_read_b64 v[124:125], v9 offset:28160                    // 00000000D724: D8EC6E00 7C000009
	ds_read_b64 v[126:127], v9 offset:28288                    // 00000000D72C: D8EC6E80 7E000009
	v_mov_b32_dpp v64, v42 row_shr:4 row_mask:0xf bank_mask:0xf// 00000000D734: 7E8002FA FF01142A
	v_mov_b32_dpp v65, v42 row_shl:4 row_mask:0xf bank_mask:0xf// 00000000D73C: 7E8202FA FF01042A
	v_cndmask_b32_e64 v248, v42, v64, s[44:45]                 // 00000000D744: D10000F8 00B2812A
	v_cndmask_b32_e64 v249, v65, v42, s[44:45]                 // 00000000D74C: D10000F9 00B25541
	v_mov_b32_dpp v64, v248 row_shr:8 row_mask:0xf bank_mask:0xf// 00000000D754: 7E8002FA FF0118F8
	v_mov_b32_dpp v65, v248 row_shl:8 row_mask:0xf bank_mask:0xf// 00000000D75C: 7E8202FA FF0108F8
	v_mov_b32_dpp v66, v249 row_shr:8 row_mask:0xf bank_mask:0xf// 00000000D764: 7E8402FA FF0118F9
	v_mov_b32_dpp v67, v249 row_shl:8 row_mask:0xf bank_mask:0xf// 00000000D76C: 7E8602FA FF0108F9
	v_mov_b32_e32 v68, v248                                    // 00000000D774: 7E8803F8
	v_mov_b32_e32 v69, v249                                    // 00000000D778: 7E8A03F9
	v_cndmask_b32_e64 v248, v68, v64, s[42:43]                 // 00000000D77C: D10000F8 00AA8144
	v_cndmask_b32_e64 v250, v68, v65, s[78:79]                 // 00000000D784: D10000FA 013A8344
	v_cndmask_b32_e64 v249, v69, v66, s[42:43]                 // 00000000D78C: D10000F9 00AA8545
	v_cndmask_b32_e64 v251, v69, v67, s[78:79]                 // 00000000D794: D10000FB 013A8745
	v_mov_b32_dpp v64, v57 row_shr:4 row_mask:0xf bank_mask:0xf// 00000000D79C: 7E8002FA FF011439
	v_mov_b32_dpp v65, v57 row_shl:4 row_mask:0xf bank_mask:0xf// 00000000D7A4: 7E8202FA FF010439
	v_cndmask_b32_e64 v252, v57, v64, s[44:45]                 // 00000000D7AC: D10000FC 00B28139
	v_cndmask_b32_e64 v253, v65, v57, s[44:45]                 // 00000000D7B4: D10000FD 00B27341
	v_mov_b32_dpp v64, v252 row_shr:8 row_mask:0xf bank_mask:0xf// 00000000D7BC: 7E8002FA FF0118FC
	v_mov_b32_dpp v65, v252 row_shl:8 row_mask:0xf bank_mask:0xf// 00000000D7C4: 7E8202FA FF0108FC
	v_mov_b32_dpp v66, v253 row_shr:8 row_mask:0xf bank_mask:0xf// 00000000D7CC: 7E8402FA FF0118FD
	v_mov_b32_dpp v67, v253 row_shl:8 row_mask:0xf bank_mask:0xf// 00000000D7D4: 7E8602FA FF0108FD
	v_mov_b32_e32 v68, v252                                    // 00000000D7DC: 7E8803FC
	v_mov_b32_e32 v69, v253                                    // 00000000D7E0: 7E8A03FD
	v_cndmask_b32_e64 v252, v68, v64, s[42:43]                 // 00000000D7E4: D10000FC 00AA8144
	v_cndmask_b32_e64 v254, v68, v65, s[78:79]                 // 00000000D7EC: D10000FE 013A8344
	v_cndmask_b32_e64 v253, v69, v66, s[42:43]                 // 00000000D7F4: D10000FD 00AA8545
	v_cndmask_b32_e64 v255, v69, v67, s[78:79]                 // 00000000D7FC: D10000FF 013A8745
	v_mul_f32_e32 v128, v19, v128                              // 00000000D804: 0B010113
	v_mul_f32_e32 v129, v19, v129                              // 00000000D808: 0B030313
	v_mul_f32_e32 v130, v19, v130                              // 00000000D80C: 0B050513
	v_mul_f32_e32 v131, v19, v131                              // 00000000D810: 0B070713
	v_mul_f32_e32 v132, v19, v132                              // 00000000D814: 0B090913
	v_mul_f32_e32 v133, v19, v133                              // 00000000D818: 0B0B0B13
	v_mul_f32_e32 v134, v19, v134                              // 00000000D81C: 0B0D0D13
	v_mul_f32_e32 v135, v19, v135                              // 00000000D820: 0B0F0F13
	v_mul_f32_e32 v136, v19, v136                              // 00000000D824: 0B111113
	v_mul_f32_e32 v137, v19, v137                              // 00000000D828: 0B131313
	v_mul_f32_e32 v138, v19, v138                              // 00000000D82C: 0B151513
	v_mul_f32_e32 v139, v19, v139                              // 00000000D830: 0B171713
	v_mul_f32_e32 v140, v19, v140                              // 00000000D834: 0B191913
	v_mul_f32_e32 v141, v19, v141                              // 00000000D838: 0B1B1B13
	v_mul_f32_e32 v142, v19, v142                              // 00000000D83C: 0B1D1D13
	v_mul_f32_e32 v143, v19, v143                              // 00000000D840: 0B1F1F13
	v_mul_f32_dpp v128, v248, v128 quad_perm:[0,0,0,0] row_mask:0xf bank_mask:0xf// 00000000D844: 0B0100FA FF0000F8
	v_mul_f32_dpp v129, v248, v129 quad_perm:[1,1,1,1] row_mask:0xf bank_mask:0xf// 00000000D84C: 0B0302FA FF0055F8
	v_mul_f32_dpp v130, v248, v130 quad_perm:[2,2,2,2] row_mask:0xf bank_mask:0xf// 00000000D854: 0B0504FA FF00AAF8
	v_mul_f32_dpp v131, v248, v131 quad_perm:[3,3,3,3] row_mask:0xf bank_mask:0xf// 00000000D85C: 0B0706FA FF00FFF8
	v_mul_f32_dpp v132, v249, v132 quad_perm:[0,0,0,0] row_mask:0xf bank_mask:0xf// 00000000D864: 0B0908FA FF0000F9
	v_mul_f32_dpp v133, v249, v133 quad_perm:[1,1,1,1] row_mask:0xf bank_mask:0xf// 00000000D86C: 0B0B0AFA FF0055F9
	v_mul_f32_dpp v134, v249, v134 quad_perm:[2,2,2,2] row_mask:0xf bank_mask:0xf// 00000000D874: 0B0D0CFA FF00AAF9
	v_mul_f32_dpp v135, v249, v135 quad_perm:[3,3,3,3] row_mask:0xf bank_mask:0xf// 00000000D87C: 0B0F0EFA FF00FFF9
	v_mul_f32_dpp v136, v250, v136 quad_perm:[0,0,0,0] row_mask:0xf bank_mask:0xf// 00000000D884: 0B1110FA FF0000FA
	v_mul_f32_dpp v137, v250, v137 quad_perm:[1,1,1,1] row_mask:0xf bank_mask:0xf// 00000000D88C: 0B1312FA FF0055FA
	v_mul_f32_dpp v138, v250, v138 quad_perm:[2,2,2,2] row_mask:0xf bank_mask:0xf// 00000000D894: 0B1514FA FF00AAFA
	v_mul_f32_dpp v139, v250, v139 quad_perm:[3,3,3,3] row_mask:0xf bank_mask:0xf// 00000000D89C: 0B1716FA FF00FFFA
	v_mul_f32_dpp v140, v251, v140 quad_perm:[0,0,0,0] row_mask:0xf bank_mask:0xf// 00000000D8A4: 0B1918FA FF0000FB
	v_mul_f32_dpp v141, v251, v141 quad_perm:[1,1,1,1] row_mask:0xf bank_mask:0xf// 00000000D8AC: 0B1B1AFA FF0055FB
	v_mul_f32_dpp v142, v251, v142 quad_perm:[2,2,2,2] row_mask:0xf bank_mask:0xf// 00000000D8B4: 0B1D1CFA FF00AAFB
	v_mul_f32_dpp v143, v251, v143 quad_perm:[3,3,3,3] row_mask:0xf bank_mask:0xf// 00000000D8BC: 0B1F1EFA FF00FFFB
	s_cmp_le_i32 s90, s89                                      // 00000000D8C4: BF05595A
	s_cbranch_scc1 label_2E24                                  // 00000000D8C8: BF850071
	v_mov_b32_e32 v66, 0xff800000                              // 00000000D8CC: 7E8402FF FF800000
	s_mov_b32 s60, s90                                         // 00000000D8D4: BEBC005A
	s_add_u32 s61, s89, 0xff                                   // 00000000D8D8: 803DFF59 000000FF
	v_mov_b32_e32 v64, s61                                     // 00000000D8E0: 7E80023D
	v_lshrrev_b32_e32 v240, 4, v0                              // 00000000D8E4: 21E00084
	v_mul_i32_i24_e32 v240, 4, v240                            // 00000000D8E8: 0DE1E084
	v_add_u32_e32 v240, s60, v240                              // 00000000D8EC: 69E1E03C
	s_mov_b32 s61, 1                                           // 00000000D8F0: BEBD0081
	s_mul_i32 s60, 16, s7                                      // 00000000D8F4: 923C0790
	v_sub_u32_e64 v240, v240, s61                              // 00000000D8F8: D13500F0 00007BF0
	v_add_u32_e32 v240, s60, v240                              // 00000000D900: 69E1E03C
	v_add_u32_e32 v241, 1, v240                                // 00000000D904: 69E3E081
	v_add_u32_e32 v242, 2, v240                                // 00000000D908: 69E5E082
	v_add_u32_e32 v243, 3, v240                                // 00000000D90C: 69E7E083
	v_cmp_le_u32_e64 s[40:41], v240, v64                       // 00000000D910: D0CB0028 000281F0
	v_add_u32_e32 v240, 64, v240                               // 00000000D918: 69E1E0C0
	s_nop 0                                                    // 00000000D91C: BF800000
	v_cndmask_b32_e64 v128, v66, v128, s[40:41]                // 00000000D920: D1000080 00A30142
	v_cmp_le_u32_e64 s[40:41], v241, v64                       // 00000000D928: D0CB0028 000281F1
	v_add_u32_e32 v241, 64, v241                               // 00000000D930: 69E3E2C0
	s_nop 0                                                    // 00000000D934: BF800000
	v_cndmask_b32_e64 v129, v66, v129, s[40:41]                // 00000000D938: D1000081 00A30342
	v_cmp_le_u32_e64 s[40:41], v242, v64                       // 00000000D940: D0CB0028 000281F2
	v_add_u32_e32 v242, 64, v242                               // 00000000D948: 69E5E4C0
	s_nop 0                                                    // 00000000D94C: BF800000
	v_cndmask_b32_e64 v130, v66, v130, s[40:41]                // 00000000D950: D1000082 00A30542
	v_cmp_le_u32_e64 s[40:41], v243, v64                       // 00000000D958: D0CB0028 000281F3
	v_add_u32_e32 v243, 64, v243                               // 00000000D960: 69E7E6C0
	s_nop 0                                                    // 00000000D964: BF800000
	v_cndmask_b32_e64 v131, v66, v131, s[40:41]                // 00000000D968: D1000083 00A30742
	v_cmp_le_u32_e64 s[40:41], v240, v64                       // 00000000D970: D0CB0028 000281F0
	v_add_u32_e32 v240, 64, v240                               // 00000000D978: 69E1E0C0
	s_nop 0                                                    // 00000000D97C: BF800000
	v_cndmask_b32_e64 v132, v66, v132, s[40:41]                // 00000000D980: D1000084 00A30942
	v_cmp_le_u32_e64 s[40:41], v241, v64                       // 00000000D988: D0CB0028 000281F1
	v_add_u32_e32 v241, 64, v241                               // 00000000D990: 69E3E2C0
	s_nop 0                                                    // 00000000D994: BF800000
	v_cndmask_b32_e64 v133, v66, v133, s[40:41]                // 00000000D998: D1000085 00A30B42
	v_cmp_le_u32_e64 s[40:41], v242, v64                       // 00000000D9A0: D0CB0028 000281F2
	v_add_u32_e32 v242, 64, v242                               // 00000000D9A8: 69E5E4C0
	s_nop 0                                                    // 00000000D9AC: BF800000
	v_cndmask_b32_e64 v134, v66, v134, s[40:41]                // 00000000D9B0: D1000086 00A30D42
	v_cmp_le_u32_e64 s[40:41], v243, v64                       // 00000000D9B8: D0CB0028 000281F3
	v_add_u32_e32 v243, 64, v243                               // 00000000D9C0: 69E7E6C0
	s_nop 0                                                    // 00000000D9C4: BF800000
	v_cndmask_b32_e64 v135, v66, v135, s[40:41]                // 00000000D9C8: D1000087 00A30F42
	v_cmp_le_u32_e64 s[40:41], v240, v64                       // 00000000D9D0: D0CB0028 000281F0
	v_add_u32_e32 v240, 64, v240                               // 00000000D9D8: 69E1E0C0
	s_nop 0                                                    // 00000000D9DC: BF800000
	v_cndmask_b32_e64 v136, v66, v136, s[40:41]                // 00000000D9E0: D1000088 00A31142
	v_cmp_le_u32_e64 s[40:41], v241, v64                       // 00000000D9E8: D0CB0028 000281F1
	v_add_u32_e32 v241, 64, v241                               // 00000000D9F0: 69E3E2C0
	s_nop 0                                                    // 00000000D9F4: BF800000
	v_cndmask_b32_e64 v137, v66, v137, s[40:41]                // 00000000D9F8: D1000089 00A31342
	v_cmp_le_u32_e64 s[40:41], v242, v64                       // 00000000DA00: D0CB0028 000281F2
	v_add_u32_e32 v242, 64, v242                               // 00000000DA08: 69E5E4C0
	s_nop 0                                                    // 00000000DA0C: BF800000
	v_cndmask_b32_e64 v138, v66, v138, s[40:41]                // 00000000DA10: D100008A 00A31542
	v_cmp_le_u32_e64 s[40:41], v243, v64                       // 00000000DA18: D0CB0028 000281F3
	v_add_u32_e32 v243, 64, v243                               // 00000000DA20: 69E7E6C0
	s_nop 0                                                    // 00000000DA24: BF800000
	v_cndmask_b32_e64 v139, v66, v139, s[40:41]                // 00000000DA28: D100008B 00A31742
	v_cmp_le_u32_e64 s[40:41], v240, v64                       // 00000000DA30: D0CB0028 000281F0
	v_add_u32_e32 v240, 64, v240                               // 00000000DA38: 69E1E0C0
	s_nop 0                                                    // 00000000DA3C: BF800000
	v_cndmask_b32_e64 v140, v66, v140, s[40:41]                // 00000000DA40: D100008C 00A31942
	v_cmp_le_u32_e64 s[40:41], v241, v64                       // 00000000DA48: D0CB0028 000281F1
	v_add_u32_e32 v241, 64, v241                               // 00000000DA50: 69E3E2C0
	s_nop 0                                                    // 00000000DA54: BF800000
	v_cndmask_b32_e64 v141, v66, v141, s[40:41]                // 00000000DA58: D100008D 00A31B42
	v_cmp_le_u32_e64 s[40:41], v242, v64                       // 00000000DA60: D0CB0028 000281F2
	v_add_u32_e32 v242, 64, v242                               // 00000000DA68: 69E5E4C0
	s_nop 0                                                    // 00000000DA6C: BF800000
	v_cndmask_b32_e64 v142, v66, v142, s[40:41]                // 00000000DA70: D100008E 00A31D42
	v_cmp_le_u32_e64 s[40:41], v243, v64                       // 00000000DA78: D0CB0028 000281F3
	v_add_u32_e32 v243, 64, v243                               // 00000000DA80: 69E7E6C0
	s_nop 0                                                    // 00000000DA84: BF800000
	v_cndmask_b32_e64 v143, v66, v143, s[40:41]                // 00000000DA88: D100008F 00A31F42

000000000000da90 <label_2E24>:
	s_add_u32 s90, s91, s90                                    // 00000000DA90: 805A5A5B
	s_and_b32 s60, s72, 0xff                                   // 00000000DA94: 863CFF48 000000FF
	v_mov_b32_e32 v65, s60                                     // 00000000DA9C: 7E82023C
	v_lshrrev_b32_e32 v240, 4, v0                              // 00000000DAA0: 21E00084
	v_mul_i32_i24_e32 v240, 4, v240                            // 00000000DAA4: 0DE1E084
	s_mul_i32 s60, s7, 16                                      // 00000000DAA8: 923C9007
	v_add_u32_e32 v240, s60, v240                              // 00000000DAAC: 69E1E03C
	v_add_u32_e32 v241, 1, v240                                // 00000000DAB0: 69E3E081
	v_add_u32_e32 v242, 2, v240                                // 00000000DAB4: 69E5E082
	v_add_u32_e32 v243, 3, v240                                // 00000000DAB8: 69E7E083
	v_mov_b32_e32 v64, 0xff800000                              // 00000000DABC: 7E8002FF FF800000
	v_cmp_lt_u32_e64 s[40:41], v240, v65                       // 00000000DAC4: D0C90028 000283F0
	v_add_u32_e32 v240, 64, v240                               // 00000000DACC: 69E1E0C0
	s_nop 0                                                    // 00000000DAD0: BF800000
	v_cndmask_b32_e64 v128, v64, v128, s[40:41]                // 00000000DAD4: D1000080 00A30140
	v_cmp_lt_u32_e64 s[40:41], v241, v65                       // 00000000DADC: D0C90028 000283F1
	v_add_u32_e32 v241, 64, v241                               // 00000000DAE4: 69E3E2C0
	s_nop 0                                                    // 00000000DAE8: BF800000
	v_cndmask_b32_e64 v129, v64, v129, s[40:41]                // 00000000DAEC: D1000081 00A30340
	v_cmp_lt_u32_e64 s[40:41], v242, v65                       // 00000000DAF4: D0C90028 000283F2
	v_add_u32_e32 v242, 64, v242                               // 00000000DAFC: 69E5E4C0
	s_nop 0                                                    // 00000000DB00: BF800000
	v_cndmask_b32_e64 v130, v64, v130, s[40:41]                // 00000000DB04: D1000082 00A30540
	v_cmp_lt_u32_e64 s[40:41], v243, v65                       // 00000000DB0C: D0C90028 000283F3
	v_add_u32_e32 v243, 64, v243                               // 00000000DB14: 69E7E6C0
	s_nop 0                                                    // 00000000DB18: BF800000
	v_cndmask_b32_e64 v131, v64, v131, s[40:41]                // 00000000DB1C: D1000083 00A30740
	v_cmp_lt_u32_e64 s[40:41], v240, v65                       // 00000000DB24: D0C90028 000283F0
	v_add_u32_e32 v240, 64, v240                               // 00000000DB2C: 69E1E0C0
	s_nop 0                                                    // 00000000DB30: BF800000
	v_cndmask_b32_e64 v132, v64, v132, s[40:41]                // 00000000DB34: D1000084 00A30940
	v_cmp_lt_u32_e64 s[40:41], v241, v65                       // 00000000DB3C: D0C90028 000283F1
	v_add_u32_e32 v241, 64, v241                               // 00000000DB44: 69E3E2C0
	s_nop 0                                                    // 00000000DB48: BF800000
	v_cndmask_b32_e64 v133, v64, v133, s[40:41]                // 00000000DB4C: D1000085 00A30B40
	v_cmp_lt_u32_e64 s[40:41], v242, v65                       // 00000000DB54: D0C90028 000283F2
	v_add_u32_e32 v242, 64, v242                               // 00000000DB5C: 69E5E4C0
	s_nop 0                                                    // 00000000DB60: BF800000
	v_cndmask_b32_e64 v134, v64, v134, s[40:41]                // 00000000DB64: D1000086 00A30D40
	v_cmp_lt_u32_e64 s[40:41], v243, v65                       // 00000000DB6C: D0C90028 000283F3
	v_add_u32_e32 v243, 64, v243                               // 00000000DB74: 69E7E6C0
	s_nop 0                                                    // 00000000DB78: BF800000
	v_cndmask_b32_e64 v135, v64, v135, s[40:41]                // 00000000DB7C: D1000087 00A30F40
	v_cmp_lt_u32_e64 s[40:41], v240, v65                       // 00000000DB84: D0C90028 000283F0
	v_add_u32_e32 v240, 64, v240                               // 00000000DB8C: 69E1E0C0
	s_nop 0                                                    // 00000000DB90: BF800000
	v_cndmask_b32_e64 v136, v64, v136, s[40:41]                // 00000000DB94: D1000088 00A31140
	v_cmp_lt_u32_e64 s[40:41], v241, v65                       // 00000000DB9C: D0C90028 000283F1
	v_add_u32_e32 v241, 64, v241                               // 00000000DBA4: 69E3E2C0
	s_nop 0                                                    // 00000000DBA8: BF800000
	v_cndmask_b32_e64 v137, v64, v137, s[40:41]                // 00000000DBAC: D1000089 00A31340
	v_cmp_lt_u32_e64 s[40:41], v242, v65                       // 00000000DBB4: D0C90028 000283F2
	v_add_u32_e32 v242, 64, v242                               // 00000000DBBC: 69E5E4C0
	s_nop 0                                                    // 00000000DBC0: BF800000
	v_cndmask_b32_e64 v138, v64, v138, s[40:41]                // 00000000DBC4: D100008A 00A31540
	v_cmp_lt_u32_e64 s[40:41], v243, v65                       // 00000000DBCC: D0C90028 000283F3
	v_add_u32_e32 v243, 64, v243                               // 00000000DBD4: 69E7E6C0
	s_nop 0                                                    // 00000000DBD8: BF800000
	v_cndmask_b32_e64 v139, v64, v139, s[40:41]                // 00000000DBDC: D100008B 00A31740
	v_cmp_lt_u32_e64 s[40:41], v240, v65                       // 00000000DBE4: D0C90028 000283F0
	v_add_u32_e32 v240, 64, v240                               // 00000000DBEC: 69E1E0C0
	s_nop 0                                                    // 00000000DBF0: BF800000
	v_cndmask_b32_e64 v140, v64, v140, s[40:41]                // 00000000DBF4: D100008C 00A31940
	v_cmp_lt_u32_e64 s[40:41], v241, v65                       // 00000000DBFC: D0C90028 000283F1
	v_add_u32_e32 v241, 64, v241                               // 00000000DC04: 69E3E2C0
	s_nop 0                                                    // 00000000DC08: BF800000
	v_cndmask_b32_e64 v141, v64, v141, s[40:41]                // 00000000DC0C: D100008D 00A31B40
	v_cmp_lt_u32_e64 s[40:41], v242, v65                       // 00000000DC14: D0C90028 000283F2
	v_add_u32_e32 v242, 64, v242                               // 00000000DC1C: 69E5E4C0
	s_nop 0                                                    // 00000000DC20: BF800000
	v_cndmask_b32_e64 v142, v64, v142, s[40:41]                // 00000000DC24: D100008E 00A31D40
	v_cmp_lt_u32_e64 s[40:41], v243, v65                       // 00000000DC2C: D0C90028 000283F3
	v_add_u32_e32 v243, 64, v243                               // 00000000DC34: 69E7E6C0
	s_nop 0                                                    // 00000000DC38: BF800000
	v_cndmask_b32_e64 v143, v64, v143, s[40:41]                // 00000000DC3C: D100008F 00A31F40
	v_mov_b32_e32 v48, v128                                    // 00000000DC44: 7E600380
	v_max3_f32 v48, v128, v129, v48                            // 00000000DC48: D1D30030 04C30380
	v_max3_f32 v48, v130, v131, v48                            // 00000000DC50: D1D30030 04C30782
	v_max3_f32 v48, v132, v133, v48                            // 00000000DC58: D1D30030 04C30B84
	v_max3_f32 v48, v134, v135, v48                            // 00000000DC60: D1D30030 04C30F86
	v_max3_f32 v48, v136, v137, v48                            // 00000000DC68: D1D30030 04C31388
	v_max3_f32 v48, v138, v139, v48                            // 00000000DC70: D1D30030 04C3178A
	v_max3_f32 v48, v140, v141, v48                            // 00000000DC78: D1D30030 04C31B8C
	v_max3_f32 v48, v142, v143, v48                            // 00000000DC80: D1D30030 04C31F8E
	ds_write_b32 v8, v48 offset:16896                          // 00000000DC88: D81A4200 00003008
	v_mul_f32_e32 v216, v50, v216                              // 00000000DC90: 0BB1B132
	v_mul_f32_e32 v217, v50, v217                              // 00000000DC94: 0BB3B332
	v_mul_f32_e32 v218, v50, v218                              // 00000000DC98: 0BB5B532
	v_mul_f32_e32 v219, v50, v219                              // 00000000DC9C: 0BB7B732
	v_mul_f32_e32 v220, v50, v220                              // 00000000DCA0: 0BB9B932
	v_mul_f32_e32 v221, v50, v221                              // 00000000DCA4: 0BBBBB32
	v_mul_f32_e32 v222, v50, v222                              // 00000000DCA8: 0BBDBD32
	v_mul_f32_e32 v223, v50, v223                              // 00000000DCAC: 0BBFBF32
	s_waitcnt lgkmcnt(0)                                       // 00000000DCB0: BF8CC07F
	s_barrier                                                  // 00000000DCB4: BF8A0000
	ds_read_b32 v64, v7 offset:16896                           // 00000000DCB8: D86C4200 40000007
	ds_read_b32 v65, v7 offset:16960                           // 00000000DCC0: D86C4240 41000007
	ds_read_b32 v66, v7 offset:17024                           // 00000000DCC8: D86C4280 42000007
	ds_read_b32 v67, v7 offset:17088                           // 00000000DCD0: D86C42C0 43000007
	ds_read_b32 v68, v7 offset:17152                           // 00000000DCD8: D86C4300 44000007
	ds_read_b32 v69, v7 offset:17216                           // 00000000DCE0: D86C4340 45000007
	ds_read_b32 v70, v7 offset:17280                           // 00000000DCE8: D86C4380 46000007
	ds_read_b32 v71, v7 offset:17344                           // 00000000DCF0: D86C43C0 47000007
	ds_read_b32 v72, v7 offset:17408                           // 00000000DCF8: D86C4400 48000007
	ds_read_b32 v73, v7 offset:17472                           // 00000000DD00: D86C4440 49000007
	ds_read_b32 v74, v7 offset:17536                           // 00000000DD08: D86C4480 4A000007
	ds_read_b32 v75, v7 offset:17600                           // 00000000DD10: D86C44C0 4B000007
	ds_read_b32 v76, v7 offset:17664                           // 00000000DD18: D86C4500 4C000007
	ds_read_b32 v77, v7 offset:17728                           // 00000000DD20: D86C4540 4D000007
	ds_read_b32 v78, v7 offset:17792                           // 00000000DD28: D86C4580 4E000007
	ds_read_b32 v79, v7 offset:17856                           // 00000000DD30: D86C45C0 4F000007
	v_mul_f32_e32 v184, v45, v184                              // 00000000DD38: 0B71712D
	v_mul_f32_e32 v185, v45, v185                              // 00000000DD3C: 0B73732D
	v_mul_f32_e32 v186, v45, v186                              // 00000000DD40: 0B75752D
	v_mul_f32_e32 v187, v45, v187                              // 00000000DD44: 0B77772D
	v_mul_f32_e32 v188, v45, v188                              // 00000000DD48: 0B79792D
	v_mul_f32_e32 v189, v45, v189                              // 00000000DD4C: 0B7B7B2D
	v_mul_f32_e32 v190, v45, v190                              // 00000000DD50: 0B7D7D2D
	v_mul_f32_e32 v191, v45, v191                              // 00000000DD54: 0B7F7F2D
	s_waitcnt lgkmcnt(0)                                       // 00000000DD58: BF8CC07F
	v_max3_f32 v48, v64, v65, v48                              // 00000000DD5C: D1D30030 04C28340
	v_max3_f32 v48, v66, v67, v48                              // 00000000DD64: D1D30030 04C28742
	v_max3_f32 v48, v68, v69, v48                              // 00000000DD6C: D1D30030 04C28B44
	v_max3_f32 v48, v70, v71, v48                              // 00000000DD74: D1D30030 04C28F46
	v_max3_f32 v48, v72, v73, v48                              // 00000000DD7C: D1D30030 04C29348
	v_max3_f32 v48, v74, v75, v48                              // 00000000DD84: D1D30030 04C2974A
	v_max3_f32 v48, v76, v77, v48                              // 00000000DD8C: D1D30030 04C29B4C
	v_max3_f32 v48, v78, v79, v48                              // 00000000DD94: D1D30030 04C29F4E
	v_mov_b32_e32 v64, 0xff800000                              // 00000000DD9C: 7E8002FF FF800000
	v_cmp_eq_u32_e64 s[40:41], v64, v12                        // 00000000DDA4: D0CA0028 00021940
	s_nop 1                                                    // 00000000DDAC: BF800001
	v_max_f32_e32 v15, v48, v12                                // 00000000DDB0: 161E1930
	v_mul_f32_e32 v53, s64, v15                                // 00000000DDB4: 0A6A1E40
	v_fma_f32 v128, v128, s64, -v53                            // 00000000DDB8: D1CB0080 84D48180
	v_fma_f32 v129, v129, s64, -v53                            // 00000000DDC0: D1CB0081 84D48181
	v_fma_f32 v130, v130, s64, -v53                            // 00000000DDC8: D1CB0082 84D48182
	v_fma_f32 v131, v131, s64, -v53                            // 00000000DDD0: D1CB0083 84D48183
	v_fma_f32 v132, v132, s64, -v53                            // 00000000DDD8: D1CB0084 84D48184
	v_fma_f32 v133, v133, s64, -v53                            // 00000000DDE0: D1CB0085 84D48185
	v_fma_f32 v134, v134, s64, -v53                            // 00000000DDE8: D1CB0086 84D48186
	v_fma_f32 v135, v135, s64, -v53                            // 00000000DDF0: D1CB0087 84D48187
	v_fma_f32 v136, v136, s64, -v53                            // 00000000DDF8: D1CB0088 84D48188
	v_fma_f32 v137, v137, s64, -v53                            // 00000000DE00: D1CB0089 84D48189
	v_fma_f32 v138, v138, s64, -v53                            // 00000000DE08: D1CB008A 84D4818A
	v_fma_f32 v139, v139, s64, -v53                            // 00000000DE10: D1CB008B 84D4818B
	v_fma_f32 v140, v140, s64, -v53                            // 00000000DE18: D1CB008C 84D4818C
	v_fma_f32 v141, v141, s64, -v53                            // 00000000DE20: D1CB008D 84D4818D
	v_fma_f32 v142, v142, s64, -v53                            // 00000000DE28: D1CB008E 84D4818E
	v_fma_f32 v143, v143, s64, -v53                            // 00000000DE30: D1CB008F 84D4818F
	v_exp_f32_e32 v128, v128                                   // 00000000DE38: 7F004180
	v_exp_f32_e32 v129, v129                                   // 00000000DE3C: 7F024181
	v_exp_f32_e32 v130, v130                                   // 00000000DE40: 7F044182
	v_exp_f32_e32 v131, v131                                   // 00000000DE44: 7F064183
	v_exp_f32_e32 v132, v132                                   // 00000000DE48: 7F084184
	v_exp_f32_e32 v133, v133                                   // 00000000DE4C: 7F0A4185
	v_exp_f32_e32 v134, v134                                   // 00000000DE50: 7F0C4186
	v_exp_f32_e32 v135, v135                                   // 00000000DE54: 7F0E4187
	v_exp_f32_e32 v136, v136                                   // 00000000DE58: 7F104188
	v_exp_f32_e32 v137, v137                                   // 00000000DE5C: 7F124189
	v_exp_f32_e32 v138, v138                                   // 00000000DE60: 7F14418A
	v_exp_f32_e32 v139, v139                                   // 00000000DE64: 7F16418B
	v_exp_f32_e32 v140, v140                                   // 00000000DE68: 7F18418C
	v_exp_f32_e32 v141, v141                                   // 00000000DE6C: 7F1A418D
	v_exp_f32_e32 v142, v142                                   // 00000000DE70: 7F1C418E
	v_exp_f32_e32 v143, v143                                   // 00000000DE74: 7F1E418F
	v_mul_f32_dpp v240, v252, v128 quad_perm:[0,0,0,0] row_mask:0xf bank_mask:0xf// 00000000DE78: 0BE100FA FF0000FC
	v_mul_f32_dpp v241, v252, v129 quad_perm:[1,1,1,1] row_mask:0xf bank_mask:0xf// 00000000DE80: 0BE302FA FF0055FC
	v_mul_f32_dpp v242, v252, v130 quad_perm:[2,2,2,2] row_mask:0xf bank_mask:0xf// 00000000DE88: 0BE504FA FF00AAFC
	v_mul_f32_dpp v243, v252, v131 quad_perm:[3,3,3,3] row_mask:0xf bank_mask:0xf// 00000000DE90: 0BE706FA FF00FFFC
	v_mul_f32_dpp v244, v253, v132 quad_perm:[0,0,0,0] row_mask:0xf bank_mask:0xf// 00000000DE98: 0BE908FA FF0000FD
	v_mul_f32_dpp v245, v253, v133 quad_perm:[1,1,1,1] row_mask:0xf bank_mask:0xf// 00000000DEA0: 0BEB0AFA FF0055FD
	v_mul_f32_dpp v246, v253, v134 quad_perm:[2,2,2,2] row_mask:0xf bank_mask:0xf// 00000000DEA8: 0BED0CFA FF00AAFD
	v_mul_f32_dpp v247, v253, v135 quad_perm:[3,3,3,3] row_mask:0xf bank_mask:0xf// 00000000DEB0: 0BEF0EFA FF00FFFD
	v_mul_f32_dpp v248, v254, v136 quad_perm:[0,0,0,0] row_mask:0xf bank_mask:0xf// 00000000DEB8: 0BF110FA FF0000FE
	v_mul_f32_dpp v249, v254, v137 quad_perm:[1,1,1,1] row_mask:0xf bank_mask:0xf// 00000000DEC0: 0BF312FA FF0055FE
	v_mul_f32_dpp v250, v254, v138 quad_perm:[2,2,2,2] row_mask:0xf bank_mask:0xf// 00000000DEC8: 0BF514FA FF00AAFE
	v_mul_f32_dpp v251, v254, v139 quad_perm:[3,3,3,3] row_mask:0xf bank_mask:0xf// 00000000DED0: 0BF716FA FF00FFFE
	v_mul_f32_dpp v252, v255, v140 quad_perm:[0,0,0,0] row_mask:0xf bank_mask:0xf// 00000000DED8: 0BF918FA FF0000FF
	v_mul_f32_dpp v253, v255, v141 quad_perm:[1,1,1,1] row_mask:0xf bank_mask:0xf// 00000000DEE0: 0BFB1AFA FF0055FF
	v_mul_f32_dpp v254, v255, v142 quad_perm:[2,2,2,2] row_mask:0xf bank_mask:0xf// 00000000DEE8: 0BFD1CFA FF00AAFF
	v_mul_f32_dpp v255, v255, v143 quad_perm:[3,3,3,3] row_mask:0xf bank_mask:0xf// 00000000DEF0: 0BFF1EFA FF00FFFF
	v_mov_b32_e32 v48, 0x358637bd                              // 00000000DEF8: 7E6002FF 358637BD
	v_max3_f32 v48, |v240|, |v241|, v48                        // 00000000DF00: D1D30330 04C3E3F0
	v_max3_f32 v48, |v242|, |v243|, v48                        // 00000000DF08: D1D30330 04C3E7F2
	v_max3_f32 v48, |v244|, |v245|, v48                        // 00000000DF10: D1D30330 04C3EBF4
	v_max3_f32 v48, |v246|, |v247|, v48                        // 00000000DF18: D1D30330 04C3EFF6
	v_max3_f32 v48, |v248|, |v249|, v48                        // 00000000DF20: D1D30330 04C3F3F8
	v_max3_f32 v48, |v250|, |v251|, v48                        // 00000000DF28: D1D30330 04C3F7FA
	v_max3_f32 v48, |v252|, |v253|, v48                        // 00000000DF30: D1D30330 04C3FBFC
	v_max3_f32 v48, |v254|, |v255|, v48                        // 00000000DF38: D1D30330 04C3FFFE
	ds_write_b32 v8, v48 offset:20992                          // 00000000DF40: D81A5200 00003008
	v_sub_f32_e32 v50, v12, v15                                // 00000000DF48: 04641F0C
	v_cndmask_b32_e64 v50, v50, 0, s[40:41]                    // 00000000DF4C: D1000032 00A10132
	v_mov_b32_e32 v12, v15                                     // 00000000DF54: 7E18030F
	v_mul_f32_e32 v50, s64, v50                                // 00000000DF58: 0A646440
	v_exp_f32_e32 v50, v50                                     // 00000000DF5C: 7E644132
	s_waitcnt lgkmcnt(0)                                       // 00000000DF60: BF8CC07F
	s_barrier                                                  // 00000000DF64: BF8A0000
	ds_read_b32 v64, v7 offset:20992                           // 00000000DF68: D86C5200 40000007
	ds_read_b32 v65, v7 offset:21056                           // 00000000DF70: D86C5240 41000007
	ds_read_b32 v66, v7 offset:21120                           // 00000000DF78: D86C5280 42000007
	ds_read_b32 v67, v7 offset:21184                           // 00000000DF80: D86C52C0 43000007
	ds_read_b32 v68, v7 offset:21248                           // 00000000DF88: D86C5300 44000007
	ds_read_b32 v69, v7 offset:21312                           // 00000000DF90: D86C5340 45000007
	ds_read_b32 v70, v7 offset:21376                           // 00000000DF98: D86C5380 46000007
	ds_read_b32 v71, v7 offset:21440                           // 00000000DFA0: D86C53C0 47000007
	ds_read_b32 v72, v7 offset:21504                           // 00000000DFA8: D86C5400 48000007
	ds_read_b32 v73, v7 offset:21568                           // 00000000DFB0: D86C5440 49000007
	ds_read_b32 v74, v7 offset:21632                           // 00000000DFB8: D86C5480 4A000007
	ds_read_b32 v75, v7 offset:21696                           // 00000000DFC0: D86C54C0 4B000007
	ds_read_b32 v76, v7 offset:21760                           // 00000000DFC8: D86C5500 4C000007
	ds_read_b32 v77, v7 offset:21824                           // 00000000DFD0: D86C5540 4D000007
	ds_read_b32 v78, v7 offset:21888                           // 00000000DFD8: D86C5580 4E000007
	ds_read_b32 v79, v7 offset:21952                           // 00000000DFE0: D86C55C0 4F000007
	v_mul_f32_e32 v39, v50, v39                                // 00000000DFE8: 0A4E4F32
	v_mov_b32_e32 v15, v128                                    // 00000000DFEC: 7E1E0380
	v_add_f32_e32 v15, v129, v15                               // 00000000DFF0: 021E1F81
	v_add_f32_e32 v15, v130, v15                               // 00000000DFF4: 021E1F82
	v_add_f32_e32 v15, v131, v15                               // 00000000DFF8: 021E1F83
	v_add_f32_e32 v15, v132, v15                               // 00000000DFFC: 021E1F84
	v_add_f32_e32 v15, v133, v15                               // 00000000E000: 021E1F85
	v_add_f32_e32 v15, v134, v15                               // 00000000E004: 021E1F86
	v_add_f32_e32 v15, v135, v15                               // 00000000E008: 021E1F87
	v_add_f32_e32 v15, v136, v15                               // 00000000E00C: 021E1F88
	v_add_f32_e32 v15, v137, v15                               // 00000000E010: 021E1F89
	v_add_f32_e32 v15, v138, v15                               // 00000000E014: 021E1F8A
	v_add_f32_e32 v15, v139, v15                               // 00000000E018: 021E1F8B
	v_add_f32_e32 v15, v140, v15                               // 00000000E01C: 021E1F8C
	v_add_f32_e32 v15, v141, v15                               // 00000000E020: 021E1F8D
	v_add_f32_e32 v15, v142, v15                               // 00000000E024: 021E1F8E
	v_add_f32_e32 v15, v143, v15                               // 00000000E028: 021E1F8F
	v_add_f32_e32 v39, v15, v39                                // 00000000E02C: 024E4F0F
	s_waitcnt lgkmcnt(0)                                       // 00000000E030: BF8CC07F
	v_max3_f32 v48, |v64|, |v65|, v48                          // 00000000E034: D1D30330 04C28340
	v_max3_f32 v48, |v66|, |v67|, v48                          // 00000000E03C: D1D30330 04C28742
	v_max3_f32 v48, |v68|, |v69|, v48                          // 00000000E044: D1D30330 04C28B44
	v_max3_f32 v48, |v70|, |v71|, v48                          // 00000000E04C: D1D30330 04C28F46
	v_max3_f32 v48, |v72|, |v73|, v48                          // 00000000E054: D1D30330 04C29348
	v_max3_f32 v48, |v74|, |v75|, v48                          // 00000000E05C: D1D30330 04C2974A
	v_max3_f32 v48, |v76|, |v77|, v48                          // 00000000E064: D1D30330 04C29B4C
	v_max3_f32 v48, |v78|, |v79|, v48                          // 00000000E06C: D1D30330 04C29F4E
	s_nop 2                                                    // 00000000E074: BF800002
	v_rcp_f32_e32 v48, v48                                     // 00000000E078: 7E604530
	s_nop 1                                                    // 00000000E07C: BF800001
	v_mul_f32_e32 v48, 0x43700000, v48                         // 00000000E080: 0A6060FF 43700000
	v_mul_f32_e32 v128, v48, v240                              // 00000000E088: 0B01E130
	v_mul_f32_e32 v129, v48, v241                              // 00000000E08C: 0B03E330
	v_mul_f32_e32 v130, v48, v242                              // 00000000E090: 0B05E530
	v_mul_f32_e32 v131, v48, v243                              // 00000000E094: 0B07E730
	v_mul_f32_e32 v132, v48, v244                              // 00000000E098: 0B09E930
	v_mul_f32_e32 v133, v48, v245                              // 00000000E09C: 0B0BEB30
	v_mul_f32_e32 v134, v48, v246                              // 00000000E0A0: 0B0DED30
	v_mul_f32_e32 v135, v48, v247                              // 00000000E0A4: 0B0FEF30
	v_mul_f32_e32 v136, v48, v248                              // 00000000E0A8: 0B11F130
	v_mul_f32_e32 v137, v48, v249                              // 00000000E0AC: 0B13F330
	v_mul_f32_e32 v138, v48, v250                              // 00000000E0B0: 0B15F530
	v_mul_f32_e32 v139, v48, v251                              // 00000000E0B4: 0B17F730
	v_mul_f32_e32 v140, v48, v252                              // 00000000E0B8: 0B19F930
	v_mul_f32_e32 v141, v48, v253                              // 00000000E0BC: 0B1BFB30
	v_mul_f32_e32 v142, v48, v254                              // 00000000E0C0: 0B1DFD30
	v_mul_f32_e32 v143, v48, v255                              // 00000000E0C4: 0B1FFF30
	v_cvt_pk_fp8_f32 v128, v128, v129                          // 00000000E0C8: D2A20080 00030380
	v_cvt_pk_fp8_f32 v128, v130, v131 op_sel:[0,0,1]           // 00000000E0D0: D2A24080 00030782
	v_cvt_pk_fp8_f32 v129, v132, v133                          // 00000000E0D8: D2A20081 00030B84
	v_cvt_pk_fp8_f32 v129, v134, v135 op_sel:[0,0,1]           // 00000000E0E0: D2A24081 00030F86
	v_cvt_pk_fp8_f32 v130, v136, v137                          // 00000000E0E8: D2A20082 00031388
	v_cvt_pk_fp8_f32 v130, v138, v139 op_sel:[0,0,1]           // 00000000E0F0: D2A24082 0003178A
	v_cvt_pk_fp8_f32 v131, v140, v141                          // 00000000E0F8: D2A20083 00031B8C
	v_cvt_pk_fp8_f32 v131, v142, v143 op_sel:[0,0,1]           // 00000000E100: D2A24083 00031F8E
	ds_write_b32 v10, v128 offset:29184                        // 00000000E108: D81A7200 0000800A
	ds_write_b32 v10, v129 offset:30208                        // 00000000E110: D81A7600 0000810A
	ds_write_b32 v10, v130 offset:31232                        // 00000000E118: D81A7A00 0000820A
	ds_write_b32 v10, v131 offset:32256                        // 00000000E120: D81A7E00 0000830A
	v_add_f32_e32 v216, v216, v184                             // 00000000E128: 03B171D8
	v_add_f32_e32 v217, v217, v185                             // 00000000E12C: 03B373D9
	v_add_f32_e32 v218, v218, v186                             // 00000000E130: 03B575DA
	v_add_f32_e32 v219, v219, v187                             // 00000000E134: 03B777DB
	v_add_f32_e32 v220, v220, v188                             // 00000000E138: 03B979DC
	v_add_f32_e32 v221, v221, v189                             // 00000000E13C: 03BB7BDD
	v_add_f32_e32 v222, v222, v190                             // 00000000E140: 03BD7DDE
	v_add_f32_e32 v223, v223, v191                             // 00000000E144: 03BF7FDF
	v_rcp_f32_e32 v45, v48                                     // 00000000E148: 7E5A4530
	s_waitcnt lgkmcnt(0)                                       // 00000000E14C: BF8CC07F
	s_barrier                                                  // 00000000E150: BF8A0000
	ds_read_b64 v[128:129], v9 offset:29184                    // 00000000E154: D8EC7200 80000009
	ds_read_b64 v[130:131], v9 offset:29312                    // 00000000E15C: D8EC7280 82000009
	ds_read_b64 v[132:133], v9 offset:30208                    // 00000000E164: D8EC7600 84000009
	ds_read_b64 v[134:135], v9 offset:30336                    // 00000000E16C: D8EC7680 86000009
	ds_read_b64 v[136:137], v9 offset:31232                    // 00000000E174: D8EC7A00 88000009
	ds_read_b64 v[138:139], v9 offset:31360                    // 00000000E17C: D8EC7A80 8A000009
	ds_read_b64 v[140:141], v9 offset:32256                    // 00000000E184: D8EC7E00 8C000009
	ds_read_b64 v[142:143], v9 offset:32384                    // 00000000E18C: D8EC7E80 8E000009
	s_waitcnt vmcnt(0)                                         // 00000000E194: BF8C0F70
	s_barrier                                                  // 00000000E198: BF8A0000
	v_mfma_f32_16x16x32_fp8_fp8 v[176:179], a[64:65], v[112:113], 0// 00000000E19C: D3F300B0 0A02E140
	v_mfma_f32_16x16x32_fp8_fp8 v[176:179], a[66:67], v[114:115], v[176:179]// 00000000E1A4: D3F300B0 0EC2E542
	v_mfma_f32_16x16x32_fp8_fp8 v[176:179], a[68:69], v[116:117], v[176:179]// 00000000E1AC: D3F300B0 0EC2E944
	v_mfma_f32_16x16x32_fp8_fp8 v[176:179], a[70:71], v[118:119], v[176:179]// 00000000E1B4: D3F300B0 0EC2ED46
	v_mfma_f32_16x16x32_fp8_fp8 v[176:179], a[72:73], v[120:121], v[176:179]// 00000000E1BC: D3F300B0 0EC2F148
	v_mfma_f32_16x16x32_fp8_fp8 v[176:179], a[74:75], v[122:123], v[176:179]// 00000000E1C4: D3F300B0 0EC2F54A
	v_mfma_f32_16x16x32_fp8_fp8 v[176:179], a[76:77], v[124:125], v[176:179]// 00000000E1CC: D3F300B0 0EC2F94C
	v_mfma_f32_16x16x32_fp8_fp8 v[176:179], a[78:79], v[126:127], v[176:179]// 00000000E1D4: D3F300B0 0EC2FD4E
	v_mfma_f32_16x16x32_fp8_fp8 v[180:183], a[80:81], v[112:113], 0// 00000000E1DC: D3F300B4 0A02E150
	v_mfma_f32_16x16x32_fp8_fp8 v[180:183], a[82:83], v[114:115], v[180:183]// 00000000E1E4: D3F300B4 0ED2E552
	v_mfma_f32_16x16x32_fp8_fp8 v[180:183], a[84:85], v[116:117], v[180:183]// 00000000E1EC: D3F300B4 0ED2E954
	v_mfma_f32_16x16x32_fp8_fp8 v[180:183], a[86:87], v[118:119], v[180:183]// 00000000E1F4: D3F300B4 0ED2ED56
	v_mfma_f32_16x16x32_fp8_fp8 v[180:183], a[88:89], v[120:121], v[180:183]// 00000000E1FC: D3F300B4 0ED2F158
	v_mfma_f32_16x16x32_fp8_fp8 v[180:183], a[90:91], v[122:123], v[180:183]// 00000000E204: D3F300B4 0ED2F55A
	v_mfma_f32_16x16x32_fp8_fp8 v[180:183], a[92:93], v[124:125], v[180:183]// 00000000E20C: D3F300B4 0ED2F95C
	v_mfma_f32_16x16x32_fp8_fp8 v[180:183], a[94:95], v[126:127], v[180:183]// 00000000E214: D3F300B4 0ED2FD5E
	v_mfma_f32_16x16x32_fp8_fp8 v[184:187], a[64:65], v[128:129], 0// 00000000E21C: D3F300B8 0A030140
	v_mfma_f32_16x16x32_fp8_fp8 v[184:187], a[66:67], v[130:131], v[184:187]// 00000000E224: D3F300B8 0EE30542
	v_mfma_f32_16x16x32_fp8_fp8 v[184:187], a[68:69], v[132:133], v[184:187]// 00000000E22C: D3F300B8 0EE30944
	v_mfma_f32_16x16x32_fp8_fp8 v[184:187], a[70:71], v[134:135], v[184:187]// 00000000E234: D3F300B8 0EE30D46
	v_mfma_f32_16x16x32_fp8_fp8 v[184:187], a[72:73], v[136:137], v[184:187]// 00000000E23C: D3F300B8 0EE31148
	v_mfma_f32_16x16x32_fp8_fp8 v[184:187], a[74:75], v[138:139], v[184:187]// 00000000E244: D3F300B8 0EE3154A
	v_mfma_f32_16x16x32_fp8_fp8 v[184:187], a[76:77], v[140:141], v[184:187]// 00000000E24C: D3F300B8 0EE3194C
	v_mfma_f32_16x16x32_fp8_fp8 v[184:187], a[78:79], v[142:143], v[184:187]// 00000000E254: D3F300B8 0EE31D4E
	v_mfma_f32_16x16x32_fp8_fp8 v[188:191], a[80:81], v[128:129], 0// 00000000E25C: D3F300BC 0A030150
	v_mfma_f32_16x16x32_fp8_fp8 v[188:191], a[82:83], v[130:131], v[188:191]// 00000000E264: D3F300BC 0EF30552
	v_mfma_f32_16x16x32_fp8_fp8 v[188:191], a[84:85], v[132:133], v[188:191]// 00000000E26C: D3F300BC 0EF30954
	v_mfma_f32_16x16x32_fp8_fp8 v[188:191], a[86:87], v[134:135], v[188:191]// 00000000E274: D3F300BC 0EF30D56
	v_mfma_f32_16x16x32_fp8_fp8 v[188:191], a[88:89], v[136:137], v[188:191]// 00000000E27C: D3F300BC 0EF31158
	v_mfma_f32_16x16x32_fp8_fp8 v[188:191], a[90:91], v[138:139], v[188:191]// 00000000E284: D3F300BC 0EF3155A
	v_mfma_f32_16x16x32_fp8_fp8 v[188:191], a[92:93], v[140:141], v[188:191]// 00000000E28C: D3F300BC 0EF3195C
	v_mfma_f32_16x16x32_fp8_fp8 v[188:191], a[94:95], v[142:143], v[188:191]// 00000000E294: D3F300BC 0EF31D5E
	s_nop 4                                                    // 00000000E29C: BF800004
	s_branch label_35EA                                        // 00000000E2A0: BF8205C1

000000000000e2a4 <label_3029>:
	s_waitcnt vmcnt(8) lgkmcnt(0)                              // 00000000E2A4: BF8C0078
	s_barrier                                                  // 00000000E2A8: BF8A0000
	v_mfma_f32_16x16x32_fp8_fp8 v[112:115], a[32:33], v[80:81], 0// 00000000E2AC: D3F30070 0A02A120
	v_mfma_f32_16x16x32_fp8_fp8 v[112:115], a[34:35], v[82:83], v[112:115]// 00000000E2B4: D3F30070 0DC2A522
	v_mfma_f32_16x16x32_fp8_fp8 v[112:115], a[36:37], v[84:85], v[112:115]// 00000000E2BC: D3F30070 0DC2A924
	v_mfma_f32_16x16x32_fp8_fp8 v[112:115], a[38:39], v[86:87], v[112:115]// 00000000E2C4: D3F30070 0DC2AD26
	v_mfma_f32_16x16x32_fp8_fp8 v[116:119], a[40:41], v[80:81], 0// 00000000E2CC: D3F30074 0A02A128
	v_mfma_f32_16x16x32_fp8_fp8 v[116:119], a[42:43], v[82:83], v[116:119]// 00000000E2D4: D3F30074 0DD2A52A
	v_mfma_f32_16x16x32_fp8_fp8 v[116:119], a[44:45], v[84:85], v[116:119]// 00000000E2DC: D3F30074 0DD2A92C
	v_mfma_f32_16x16x32_fp8_fp8 v[116:119], a[46:47], v[86:87], v[116:119]// 00000000E2E4: D3F30074 0DD2AD2E
	v_mfma_f32_16x16x32_fp8_fp8 v[120:123], a[48:49], v[80:81], 0// 00000000E2EC: D3F30078 0A02A130
	v_mfma_f32_16x16x32_fp8_fp8 v[120:123], a[50:51], v[82:83], v[120:123]// 00000000E2F4: D3F30078 0DE2A532
	v_mfma_f32_16x16x32_fp8_fp8 v[120:123], a[52:53], v[84:85], v[120:123]// 00000000E2FC: D3F30078 0DE2A934
	v_mfma_f32_16x16x32_fp8_fp8 v[120:123], a[54:55], v[86:87], v[120:123]// 00000000E304: D3F30078 0DE2AD36
	v_mfma_f32_16x16x32_fp8_fp8 v[124:127], a[56:57], v[80:81], 0// 00000000E30C: D3F3007C 0A02A138
	v_mfma_f32_16x16x32_fp8_fp8 v[124:127], a[58:59], v[82:83], v[124:127]// 00000000E314: D3F3007C 0DF2A53A
	v_mfma_f32_16x16x32_fp8_fp8 v[124:127], a[60:61], v[84:85], v[124:127]// 00000000E31C: D3F3007C 0DF2A93C
	v_mfma_f32_16x16x32_fp8_fp8 v[124:127], a[62:63], v[86:87], v[124:127]// 00000000E324: D3F3007C 0DF2AD3E
	v_mfma_f32_16x16x32_fp8_fp8 v[128:131], a[32:33], v[88:89], 0// 00000000E32C: D3F30080 0A02B120
	v_mfma_f32_16x16x32_fp8_fp8 v[128:131], a[34:35], v[90:91], v[128:131]// 00000000E334: D3F30080 0E02B522
	v_mfma_f32_16x16x32_fp8_fp8 v[128:131], a[36:37], v[92:93], v[128:131]// 00000000E33C: D3F30080 0E02B924
	v_mfma_f32_16x16x32_fp8_fp8 v[128:131], a[38:39], v[94:95], v[128:131]// 00000000E344: D3F30080 0E02BD26
	v_mfma_f32_16x16x32_fp8_fp8 v[132:135], a[40:41], v[88:89], 0// 00000000E34C: D3F30084 0A02B128
	v_mfma_f32_16x16x32_fp8_fp8 v[132:135], a[42:43], v[90:91], v[132:135]// 00000000E354: D3F30084 0E12B52A
	v_mfma_f32_16x16x32_fp8_fp8 v[132:135], a[44:45], v[92:93], v[132:135]// 00000000E35C: D3F30084 0E12B92C
	v_mfma_f32_16x16x32_fp8_fp8 v[132:135], a[46:47], v[94:95], v[132:135]// 00000000E364: D3F30084 0E12BD2E
	v_mfma_f32_16x16x32_fp8_fp8 v[136:139], a[48:49], v[88:89], 0// 00000000E36C: D3F30088 0A02B130
	v_mfma_f32_16x16x32_fp8_fp8 v[136:139], a[50:51], v[90:91], v[136:139]// 00000000E374: D3F30088 0E22B532
	v_mfma_f32_16x16x32_fp8_fp8 v[136:139], a[52:53], v[92:93], v[136:139]// 00000000E37C: D3F30088 0E22B934
	v_mfma_f32_16x16x32_fp8_fp8 v[136:139], a[54:55], v[94:95], v[136:139]// 00000000E384: D3F30088 0E22BD36
	v_mfma_f32_16x16x32_fp8_fp8 v[140:143], a[56:57], v[88:89], 0// 00000000E38C: D3F3008C 0A02B138
	v_mfma_f32_16x16x32_fp8_fp8 v[140:143], a[58:59], v[90:91], v[140:143]// 00000000E394: D3F3008C 0E32B53A
	v_mfma_f32_16x16x32_fp8_fp8 v[140:143], a[60:61], v[92:93], v[140:143]// 00000000E39C: D3F3008C 0E32B93C
	v_mfma_f32_16x16x32_fp8_fp8 v[140:143], a[62:63], v[94:95], v[140:143]// 00000000E3A4: D3F3008C 0E32BD3E
	v_mov_b32_dpp v64, v43 row_shr:4 row_mask:0xf bank_mask:0xf// 00000000E3AC: 7E8002FA FF01142B
	v_mov_b32_dpp v65, v43 row_shl:4 row_mask:0xf bank_mask:0xf// 00000000E3B4: 7E8202FA FF01042B
	v_cndmask_b32_e64 v248, v43, v64, s[44:45]                 // 00000000E3BC: D10000F8 00B2812B
	v_cndmask_b32_e64 v249, v65, v43, s[44:45]                 // 00000000E3C4: D10000F9 00B25741
	v_mov_b32_dpp v64, v248 row_shr:8 row_mask:0xf bank_mask:0xf// 00000000E3CC: 7E8002FA FF0118F8
	v_mov_b32_dpp v65, v248 row_shl:8 row_mask:0xf bank_mask:0xf// 00000000E3D4: 7E8202FA FF0108F8
	v_mov_b32_dpp v66, v249 row_shr:8 row_mask:0xf bank_mask:0xf// 00000000E3DC: 7E8402FA FF0118F9
	v_mov_b32_dpp v67, v249 row_shl:8 row_mask:0xf bank_mask:0xf// 00000000E3E4: 7E8602FA FF0108F9
	v_mov_b32_e32 v68, v248                                    // 00000000E3EC: 7E8803F8
	v_mov_b32_e32 v69, v249                                    // 00000000E3F0: 7E8A03F9
	v_cndmask_b32_e64 v248, v68, v64, s[42:43]                 // 00000000E3F4: D10000F8 00AA8144
	v_cndmask_b32_e64 v250, v68, v65, s[78:79]                 // 00000000E3FC: D10000FA 013A8344
	v_cndmask_b32_e64 v249, v69, v66, s[42:43]                 // 00000000E404: D10000F9 00AA8545
	v_cndmask_b32_e64 v251, v69, v67, s[78:79]                 // 00000000E40C: D10000FB 013A8745
	v_mov_b32_dpp v64, v58 row_shr:4 row_mask:0xf bank_mask:0xf// 00000000E414: 7E8002FA FF01143A
	v_mov_b32_dpp v65, v58 row_shl:4 row_mask:0xf bank_mask:0xf// 00000000E41C: 7E8202FA FF01043A
	v_cndmask_b32_e64 v252, v58, v64, s[44:45]                 // 00000000E424: D10000FC 00B2813A
	v_cndmask_b32_e64 v253, v65, v58, s[44:45]                 // 00000000E42C: D10000FD 00B27541
	v_mov_b32_dpp v64, v252 row_shr:8 row_mask:0xf bank_mask:0xf// 00000000E434: 7E8002FA FF0118FC
	v_mov_b32_dpp v65, v252 row_shl:8 row_mask:0xf bank_mask:0xf// 00000000E43C: 7E8202FA FF0108FC
	v_mov_b32_dpp v66, v253 row_shr:8 row_mask:0xf bank_mask:0xf// 00000000E444: 7E8402FA FF0118FD
	v_mov_b32_dpp v67, v253 row_shl:8 row_mask:0xf bank_mask:0xf// 00000000E44C: 7E8602FA FF0108FD
	v_mov_b32_e32 v68, v252                                    // 00000000E454: 7E8803FC
	v_mov_b32_e32 v69, v253                                    // 00000000E458: 7E8A03FD
	v_cndmask_b32_e64 v252, v68, v64, s[42:43]                 // 00000000E45C: D10000FC 00AA8144
	v_cndmask_b32_e64 v254, v68, v65, s[78:79]                 // 00000000E464: D10000FE 013A8344
	v_cndmask_b32_e64 v253, v69, v66, s[42:43]                 // 00000000E46C: D10000FD 00AA8545
	v_cndmask_b32_e64 v255, v69, v67, s[78:79]                 // 00000000E474: D10000FF 013A8745
	v_mul_f32_e32 v112, v18, v112                              // 00000000E47C: 0AE0E112
	v_mul_f32_e32 v113, v18, v113                              // 00000000E480: 0AE2E312
	v_mul_f32_e32 v114, v18, v114                              // 00000000E484: 0AE4E512
	v_mul_f32_e32 v115, v18, v115                              // 00000000E488: 0AE6E712
	v_mul_f32_e32 v116, v18, v116                              // 00000000E48C: 0AE8E912
	v_mul_f32_e32 v117, v18, v117                              // 00000000E490: 0AEAEB12
	v_mul_f32_e32 v118, v18, v118                              // 00000000E494: 0AECED12
	v_mul_f32_e32 v119, v18, v119                              // 00000000E498: 0AEEEF12
	v_mul_f32_e32 v120, v18, v120                              // 00000000E49C: 0AF0F112
	v_mul_f32_e32 v121, v18, v121                              // 00000000E4A0: 0AF2F312
	v_mul_f32_e32 v122, v18, v122                              // 00000000E4A4: 0AF4F512
	v_mul_f32_e32 v123, v18, v123                              // 00000000E4A8: 0AF6F712
	v_mul_f32_e32 v124, v18, v124                              // 00000000E4AC: 0AF8F912
	v_mul_f32_e32 v125, v18, v125                              // 00000000E4B0: 0AFAFB12
	v_mul_f32_e32 v126, v18, v126                              // 00000000E4B4: 0AFCFD12
	v_mul_f32_e32 v127, v18, v127                              // 00000000E4B8: 0AFEFF12
	v_mul_f32_dpp v112, v248, v112 quad_perm:[0,0,0,0] row_mask:0xf bank_mask:0xf// 00000000E4BC: 0AE0E0FA FF0000F8
	v_mul_f32_dpp v113, v248, v113 quad_perm:[1,1,1,1] row_mask:0xf bank_mask:0xf// 00000000E4C4: 0AE2E2FA FF0055F8
	v_mul_f32_dpp v114, v248, v114 quad_perm:[2,2,2,2] row_mask:0xf bank_mask:0xf// 00000000E4CC: 0AE4E4FA FF00AAF8
	v_mul_f32_dpp v115, v248, v115 quad_perm:[3,3,3,3] row_mask:0xf bank_mask:0xf// 00000000E4D4: 0AE6E6FA FF00FFF8
	v_mul_f32_dpp v116, v249, v116 quad_perm:[0,0,0,0] row_mask:0xf bank_mask:0xf// 00000000E4DC: 0AE8E8FA FF0000F9
	v_mul_f32_dpp v117, v249, v117 quad_perm:[1,1,1,1] row_mask:0xf bank_mask:0xf// 00000000E4E4: 0AEAEAFA FF0055F9
	v_mul_f32_dpp v118, v249, v118 quad_perm:[2,2,2,2] row_mask:0xf bank_mask:0xf// 00000000E4EC: 0AECECFA FF00AAF9
	v_mul_f32_dpp v119, v249, v119 quad_perm:[3,3,3,3] row_mask:0xf bank_mask:0xf// 00000000E4F4: 0AEEEEFA FF00FFF9
	v_mul_f32_dpp v120, v250, v120 quad_perm:[0,0,0,0] row_mask:0xf bank_mask:0xf// 00000000E4FC: 0AF0F0FA FF0000FA
	v_mul_f32_dpp v121, v250, v121 quad_perm:[1,1,1,1] row_mask:0xf bank_mask:0xf// 00000000E504: 0AF2F2FA FF0055FA
	v_mul_f32_dpp v122, v250, v122 quad_perm:[2,2,2,2] row_mask:0xf bank_mask:0xf// 00000000E50C: 0AF4F4FA FF00AAFA
	v_mul_f32_dpp v123, v250, v123 quad_perm:[3,3,3,3] row_mask:0xf bank_mask:0xf// 00000000E514: 0AF6F6FA FF00FFFA
	v_mul_f32_dpp v124, v251, v124 quad_perm:[0,0,0,0] row_mask:0xf bank_mask:0xf// 00000000E51C: 0AF8F8FA FF0000FB
	v_mul_f32_dpp v125, v251, v125 quad_perm:[1,1,1,1] row_mask:0xf bank_mask:0xf// 00000000E524: 0AFAFAFA FF0055FB
	v_mul_f32_dpp v126, v251, v126 quad_perm:[2,2,2,2] row_mask:0xf bank_mask:0xf// 00000000E52C: 0AFCFCFA FF00AAFB
	v_mul_f32_dpp v127, v251, v127 quad_perm:[3,3,3,3] row_mask:0xf bank_mask:0xf// 00000000E534: 0AFEFEFA FF00FFFB
	s_cmp_le_i32 s90, s89                                      // 00000000E53C: BF05595A
	s_cbranch_scc1 label_3142                                  // 00000000E540: BF850071
	v_mov_b32_e32 v66, 0xff800000                              // 00000000E544: 7E8402FF FF800000
	s_mov_b32 s60, s90                                         // 00000000E54C: BEBC005A
	s_add_u32 s61, s89, 0xff                                   // 00000000E550: 803DFF59 000000FF
	v_mov_b32_e32 v64, s61                                     // 00000000E558: 7E80023D
	v_lshrrev_b32_e32 v240, 4, v0                              // 00000000E55C: 21E00084
	v_mul_i32_i24_e32 v240, 4, v240                            // 00000000E560: 0DE1E084
	v_add_u32_e32 v240, s60, v240                              // 00000000E564: 69E1E03C
	s_mov_b32 s61, 0                                           // 00000000E568: BEBD0080
	s_mul_i32 s60, 16, s7                                      // 00000000E56C: 923C0790
	v_sub_u32_e64 v240, v240, s61                              // 00000000E570: D13500F0 00007BF0
	v_add_u32_e32 v240, s60, v240                              // 00000000E578: 69E1E03C
	v_add_u32_e32 v241, 1, v240                                // 00000000E57C: 69E3E081
	v_add_u32_e32 v242, 2, v240                                // 00000000E580: 69E5E082
	v_add_u32_e32 v243, 3, v240                                // 00000000E584: 69E7E083
	v_cmp_le_u32_e64 s[40:41], v240, v64                       // 00000000E588: D0CB0028 000281F0
	v_add_u32_e32 v240, 64, v240                               // 00000000E590: 69E1E0C0
	s_nop 0                                                    // 00000000E594: BF800000
	v_cndmask_b32_e64 v112, v66, v112, s[40:41]                // 00000000E598: D1000070 00A2E142
	v_cmp_le_u32_e64 s[40:41], v241, v64                       // 00000000E5A0: D0CB0028 000281F1
	v_add_u32_e32 v241, 64, v241                               // 00000000E5A8: 69E3E2C0
	s_nop 0                                                    // 00000000E5AC: BF800000
	v_cndmask_b32_e64 v113, v66, v113, s[40:41]                // 00000000E5B0: D1000071 00A2E342
	v_cmp_le_u32_e64 s[40:41], v242, v64                       // 00000000E5B8: D0CB0028 000281F2
	v_add_u32_e32 v242, 64, v242                               // 00000000E5C0: 69E5E4C0
	s_nop 0                                                    // 00000000E5C4: BF800000
	v_cndmask_b32_e64 v114, v66, v114, s[40:41]                // 00000000E5C8: D1000072 00A2E542
	v_cmp_le_u32_e64 s[40:41], v243, v64                       // 00000000E5D0: D0CB0028 000281F3
	v_add_u32_e32 v243, 64, v243                               // 00000000E5D8: 69E7E6C0
	s_nop 0                                                    // 00000000E5DC: BF800000
	v_cndmask_b32_e64 v115, v66, v115, s[40:41]                // 00000000E5E0: D1000073 00A2E742
	v_cmp_le_u32_e64 s[40:41], v240, v64                       // 00000000E5E8: D0CB0028 000281F0
	v_add_u32_e32 v240, 64, v240                               // 00000000E5F0: 69E1E0C0
	s_nop 0                                                    // 00000000E5F4: BF800000
	v_cndmask_b32_e64 v116, v66, v116, s[40:41]                // 00000000E5F8: D1000074 00A2E942
	v_cmp_le_u32_e64 s[40:41], v241, v64                       // 00000000E600: D0CB0028 000281F1
	v_add_u32_e32 v241, 64, v241                               // 00000000E608: 69E3E2C0
	s_nop 0                                                    // 00000000E60C: BF800000
	v_cndmask_b32_e64 v117, v66, v117, s[40:41]                // 00000000E610: D1000075 00A2EB42
	v_cmp_le_u32_e64 s[40:41], v242, v64                       // 00000000E618: D0CB0028 000281F2
	v_add_u32_e32 v242, 64, v242                               // 00000000E620: 69E5E4C0
	s_nop 0                                                    // 00000000E624: BF800000
	v_cndmask_b32_e64 v118, v66, v118, s[40:41]                // 00000000E628: D1000076 00A2ED42
	v_cmp_le_u32_e64 s[40:41], v243, v64                       // 00000000E630: D0CB0028 000281F3
	v_add_u32_e32 v243, 64, v243                               // 00000000E638: 69E7E6C0
	s_nop 0                                                    // 00000000E63C: BF800000
	v_cndmask_b32_e64 v119, v66, v119, s[40:41]                // 00000000E640: D1000077 00A2EF42
	v_cmp_le_u32_e64 s[40:41], v240, v64                       // 00000000E648: D0CB0028 000281F0
	v_add_u32_e32 v240, 64, v240                               // 00000000E650: 69E1E0C0
	s_nop 0                                                    // 00000000E654: BF800000
	v_cndmask_b32_e64 v120, v66, v120, s[40:41]                // 00000000E658: D1000078 00A2F142
	v_cmp_le_u32_e64 s[40:41], v241, v64                       // 00000000E660: D0CB0028 000281F1
	v_add_u32_e32 v241, 64, v241                               // 00000000E668: 69E3E2C0
	s_nop 0                                                    // 00000000E66C: BF800000
	v_cndmask_b32_e64 v121, v66, v121, s[40:41]                // 00000000E670: D1000079 00A2F342
	v_cmp_le_u32_e64 s[40:41], v242, v64                       // 00000000E678: D0CB0028 000281F2
	v_add_u32_e32 v242, 64, v242                               // 00000000E680: 69E5E4C0
	s_nop 0                                                    // 00000000E684: BF800000
	v_cndmask_b32_e64 v122, v66, v122, s[40:41]                // 00000000E688: D100007A 00A2F542
	v_cmp_le_u32_e64 s[40:41], v243, v64                       // 00000000E690: D0CB0028 000281F3
	v_add_u32_e32 v243, 64, v243                               // 00000000E698: 69E7E6C0
	s_nop 0                                                    // 00000000E69C: BF800000
	v_cndmask_b32_e64 v123, v66, v123, s[40:41]                // 00000000E6A0: D100007B 00A2F742
	v_cmp_le_u32_e64 s[40:41], v240, v64                       // 00000000E6A8: D0CB0028 000281F0
	v_add_u32_e32 v240, 64, v240                               // 00000000E6B0: 69E1E0C0
	s_nop 0                                                    // 00000000E6B4: BF800000
	v_cndmask_b32_e64 v124, v66, v124, s[40:41]                // 00000000E6B8: D100007C 00A2F942
	v_cmp_le_u32_e64 s[40:41], v241, v64                       // 00000000E6C0: D0CB0028 000281F1
	v_add_u32_e32 v241, 64, v241                               // 00000000E6C8: 69E3E2C0
	s_nop 0                                                    // 00000000E6CC: BF800000
	v_cndmask_b32_e64 v125, v66, v125, s[40:41]                // 00000000E6D0: D100007D 00A2FB42
	v_cmp_le_u32_e64 s[40:41], v242, v64                       // 00000000E6D8: D0CB0028 000281F2
	v_add_u32_e32 v242, 64, v242                               // 00000000E6E0: 69E5E4C0
	s_nop 0                                                    // 00000000E6E4: BF800000
	v_cndmask_b32_e64 v126, v66, v126, s[40:41]                // 00000000E6E8: D100007E 00A2FD42
	v_cmp_le_u32_e64 s[40:41], v243, v64                       // 00000000E6F0: D0CB0028 000281F3
	v_add_u32_e32 v243, 64, v243                               // 00000000E6F8: 69E7E6C0
	s_nop 0                                                    // 00000000E6FC: BF800000
	v_cndmask_b32_e64 v127, v66, v127, s[40:41]                // 00000000E700: D100007F 00A2FF42

000000000000e708 <label_3142>:
	s_and_b32 s60, s72, 0xff                                   // 00000000E708: 863CFF48 000000FF
	v_mov_b32_e32 v65, s60                                     // 00000000E710: 7E82023C
	v_lshrrev_b32_e32 v240, 4, v0                              // 00000000E714: 21E00084
	v_mul_i32_i24_e32 v240, 4, v240                            // 00000000E718: 0DE1E084
	s_mul_i32 s60, s7, 16                                      // 00000000E71C: 923C9007
	v_add_u32_e32 v240, s60, v240                              // 00000000E720: 69E1E03C
	v_add_u32_e32 v241, 1, v240                                // 00000000E724: 69E3E081
	v_add_u32_e32 v242, 2, v240                                // 00000000E728: 69E5E082
	v_add_u32_e32 v243, 3, v240                                // 00000000E72C: 69E7E083
	v_mov_b32_e32 v64, 0xff800000                              // 00000000E730: 7E8002FF FF800000
	v_cmp_lt_u32_e64 s[40:41], v240, v65                       // 00000000E738: D0C90028 000283F0
	v_add_u32_e32 v240, 64, v240                               // 00000000E740: 69E1E0C0
	s_nop 0                                                    // 00000000E744: BF800000
	v_cndmask_b32_e64 v112, v64, v112, s[40:41]                // 00000000E748: D1000070 00A2E140
	v_cmp_lt_u32_e64 s[40:41], v241, v65                       // 00000000E750: D0C90028 000283F1
	v_add_u32_e32 v241, 64, v241                               // 00000000E758: 69E3E2C0
	s_nop 0                                                    // 00000000E75C: BF800000
	v_cndmask_b32_e64 v113, v64, v113, s[40:41]                // 00000000E760: D1000071 00A2E340
	v_cmp_lt_u32_e64 s[40:41], v242, v65                       // 00000000E768: D0C90028 000283F2
	v_add_u32_e32 v242, 64, v242                               // 00000000E770: 69E5E4C0
	s_nop 0                                                    // 00000000E774: BF800000
	v_cndmask_b32_e64 v114, v64, v114, s[40:41]                // 00000000E778: D1000072 00A2E540
	v_cmp_lt_u32_e64 s[40:41], v243, v65                       // 00000000E780: D0C90028 000283F3
	v_add_u32_e32 v243, 64, v243                               // 00000000E788: 69E7E6C0
	s_nop 0                                                    // 00000000E78C: BF800000
	v_cndmask_b32_e64 v115, v64, v115, s[40:41]                // 00000000E790: D1000073 00A2E740
	v_cmp_lt_u32_e64 s[40:41], v240, v65                       // 00000000E798: D0C90028 000283F0
	v_add_u32_e32 v240, 64, v240                               // 00000000E7A0: 69E1E0C0
	s_nop 0                                                    // 00000000E7A4: BF800000
	v_cndmask_b32_e64 v116, v64, v116, s[40:41]                // 00000000E7A8: D1000074 00A2E940
	v_cmp_lt_u32_e64 s[40:41], v241, v65                       // 00000000E7B0: D0C90028 000283F1
	v_add_u32_e32 v241, 64, v241                               // 00000000E7B8: 69E3E2C0
	s_nop 0                                                    // 00000000E7BC: BF800000
	v_cndmask_b32_e64 v117, v64, v117, s[40:41]                // 00000000E7C0: D1000075 00A2EB40
	v_cmp_lt_u32_e64 s[40:41], v242, v65                       // 00000000E7C8: D0C90028 000283F2
	v_add_u32_e32 v242, 64, v242                               // 00000000E7D0: 69E5E4C0
	s_nop 0                                                    // 00000000E7D4: BF800000
	v_cndmask_b32_e64 v118, v64, v118, s[40:41]                // 00000000E7D8: D1000076 00A2ED40
	v_cmp_lt_u32_e64 s[40:41], v243, v65                       // 00000000E7E0: D0C90028 000283F3
	v_add_u32_e32 v243, 64, v243                               // 00000000E7E8: 69E7E6C0
	s_nop 0                                                    // 00000000E7EC: BF800000
	v_cndmask_b32_e64 v119, v64, v119, s[40:41]                // 00000000E7F0: D1000077 00A2EF40
	v_cmp_lt_u32_e64 s[40:41], v240, v65                       // 00000000E7F8: D0C90028 000283F0
	v_add_u32_e32 v240, 64, v240                               // 00000000E800: 69E1E0C0
	s_nop 0                                                    // 00000000E804: BF800000
	v_cndmask_b32_e64 v120, v64, v120, s[40:41]                // 00000000E808: D1000078 00A2F140
	v_cmp_lt_u32_e64 s[40:41], v241, v65                       // 00000000E810: D0C90028 000283F1
	v_add_u32_e32 v241, 64, v241                               // 00000000E818: 69E3E2C0
	s_nop 0                                                    // 00000000E81C: BF800000
	v_cndmask_b32_e64 v121, v64, v121, s[40:41]                // 00000000E820: D1000079 00A2F340
	v_cmp_lt_u32_e64 s[40:41], v242, v65                       // 00000000E828: D0C90028 000283F2
	v_add_u32_e32 v242, 64, v242                               // 00000000E830: 69E5E4C0
	s_nop 0                                                    // 00000000E834: BF800000
	v_cndmask_b32_e64 v122, v64, v122, s[40:41]                // 00000000E838: D100007A 00A2F540
	v_cmp_lt_u32_e64 s[40:41], v243, v65                       // 00000000E840: D0C90028 000283F3
	v_add_u32_e32 v243, 64, v243                               // 00000000E848: 69E7E6C0
	s_nop 0                                                    // 00000000E84C: BF800000
	v_cndmask_b32_e64 v123, v64, v123, s[40:41]                // 00000000E850: D100007B 00A2F740
	v_cmp_lt_u32_e64 s[40:41], v240, v65                       // 00000000E858: D0C90028 000283F0
	v_add_u32_e32 v240, 64, v240                               // 00000000E860: 69E1E0C0
	s_nop 0                                                    // 00000000E864: BF800000
	v_cndmask_b32_e64 v124, v64, v124, s[40:41]                // 00000000E868: D100007C 00A2F940
	v_cmp_lt_u32_e64 s[40:41], v241, v65                       // 00000000E870: D0C90028 000283F1
	v_add_u32_e32 v241, 64, v241                               // 00000000E878: 69E3E2C0
	s_nop 0                                                    // 00000000E87C: BF800000
	v_cndmask_b32_e64 v125, v64, v125, s[40:41]                // 00000000E880: D100007D 00A2FB40
	v_cmp_lt_u32_e64 s[40:41], v242, v65                       // 00000000E888: D0C90028 000283F2
	v_add_u32_e32 v242, 64, v242                               // 00000000E890: 69E5E4C0
	s_nop 0                                                    // 00000000E894: BF800000
	v_cndmask_b32_e64 v126, v64, v126, s[40:41]                // 00000000E898: D100007E 00A2FD40
	v_cmp_lt_u32_e64 s[40:41], v243, v65                       // 00000000E8A0: D0C90028 000283F3
	v_add_u32_e32 v243, 64, v243                               // 00000000E8A8: 69E7E6C0
	s_nop 0                                                    // 00000000E8AC: BF800000
	v_cndmask_b32_e64 v127, v64, v127, s[40:41]                // 00000000E8B0: D100007F 00A2FF40
	v_mov_b32_e32 v48, v112                                    // 00000000E8B8: 7E600370
	v_max3_f32 v48, v112, v113, v48                            // 00000000E8BC: D1D30030 04C2E370
	v_max3_f32 v48, v114, v115, v48                            // 00000000E8C4: D1D30030 04C2E772
	v_max3_f32 v48, v116, v117, v48                            // 00000000E8CC: D1D30030 04C2EB74
	v_max3_f32 v48, v118, v119, v48                            // 00000000E8D4: D1D30030 04C2EF76
	v_max3_f32 v48, v120, v121, v48                            // 00000000E8DC: D1D30030 04C2F378
	v_max3_f32 v48, v122, v123, v48                            // 00000000E8E4: D1D30030 04C2F77A
	v_max3_f32 v48, v124, v125, v48                            // 00000000E8EC: D1D30030 04C2FB7C
	v_max3_f32 v48, v126, v127, v48                            // 00000000E8F4: D1D30030 04C2FF7E
	ds_write_b32 v8, v48 offset:16896                          // 00000000E8FC: D81A4200 00003008
	v_mul_u32_u24_dpp v64, v16, v54 row_newbcast:1 row_mask:0xf bank_mask:0xf// 00000000E904: 10806CFA FF015110
	v_mul_u32_u24_dpp v65, v16, v54 row_newbcast:5 row_mask:0xf bank_mask:0xf// 00000000E90C: 10826CFA FF015510
	v_mul_u32_u24_dpp v66, v16, v54 row_newbcast:9 row_mask:0xf bank_mask:0xf// 00000000E914: 10846CFA FF015910
	v_mul_u32_u24_dpp v67, v16, v54 row_newbcast:13 row_mask:0xf bank_mask:0xf// 00000000E91C: 10866CFA FF015D10
	v_add_u32_e32 v30, v64, v6                                 // 00000000E924: 683C0D40
	v_add_u32_e32 v31, v65, v6                                 // 00000000E928: 683E0D41
	v_add_u32_e32 v32, v66, v6                                 // 00000000E92C: 68400D42
	v_add_u32_e32 v33, v67, v6                                 // 00000000E930: 68420D43
	v_mul_f32_e32 v208, v49, v208                              // 00000000E934: 0BA1A131
	v_mul_f32_e32 v209, v49, v209                              // 00000000E938: 0BA3A331
	v_mul_f32_e32 v210, v49, v210                              // 00000000E93C: 0BA5A531
	v_mul_f32_e32 v211, v49, v211                              // 00000000E940: 0BA7A731
	v_mul_f32_e32 v212, v49, v212                              // 00000000E944: 0BA9A931
	v_mul_f32_e32 v213, v49, v213                              // 00000000E948: 0BABAB31
	v_mul_f32_e32 v214, v49, v214                              // 00000000E94C: 0BADAD31
	v_mul_f32_e32 v215, v49, v215                              // 00000000E950: 0BAFAF31
	s_waitcnt lgkmcnt(0)                                       // 00000000E954: BF8CC07F
	s_barrier                                                  // 00000000E958: BF8A0000
	ds_read_b32 v64, v7 offset:16896                           // 00000000E95C: D86C4200 40000007
	ds_read_b32 v65, v7 offset:16960                           // 00000000E964: D86C4240 41000007
	ds_read_b32 v66, v7 offset:17024                           // 00000000E96C: D86C4280 42000007
	ds_read_b32 v67, v7 offset:17088                           // 00000000E974: D86C42C0 43000007
	ds_read_b32 v68, v7 offset:17152                           // 00000000E97C: D86C4300 44000007
	ds_read_b32 v69, v7 offset:17216                           // 00000000E984: D86C4340 45000007
	ds_read_b32 v70, v7 offset:17280                           // 00000000E98C: D86C4380 46000007
	ds_read_b32 v71, v7 offset:17344                           // 00000000E994: D86C43C0 47000007
	ds_read_b32 v72, v7 offset:17408                           // 00000000E99C: D86C4400 48000007
	ds_read_b32 v73, v7 offset:17472                           // 00000000E9A4: D86C4440 49000007
	ds_read_b32 v74, v7 offset:17536                           // 00000000E9AC: D86C4480 4A000007
	ds_read_b32 v75, v7 offset:17600                           // 00000000E9B4: D86C44C0 4B000007
	ds_read_b32 v76, v7 offset:17664                           // 00000000E9BC: D86C4500 4C000007
	ds_read_b32 v77, v7 offset:17728                           // 00000000E9C4: D86C4540 4D000007
	ds_read_b32 v78, v7 offset:17792                           // 00000000E9CC: D86C4580 4E000007
	ds_read_b32 v79, v7 offset:17856                           // 00000000E9D4: D86C45C0 4F000007
	v_mul_f32_e32 v176, v44, v176                              // 00000000E9DC: 0B61612C
	v_mul_f32_e32 v177, v44, v177                              // 00000000E9E0: 0B63632C
	v_mul_f32_e32 v178, v44, v178                              // 00000000E9E4: 0B65652C
	v_mul_f32_e32 v179, v44, v179                              // 00000000E9E8: 0B67672C
	v_mul_f32_e32 v180, v44, v180                              // 00000000E9EC: 0B69692C
	v_mul_f32_e32 v181, v44, v181                              // 00000000E9F0: 0B6B6B2C
	v_mul_f32_e32 v182, v44, v182                              // 00000000E9F4: 0B6D6D2C
	v_mul_f32_e32 v183, v44, v183                              // 00000000E9F8: 0B6F6F2C
	s_waitcnt lgkmcnt(0)                                       // 00000000E9FC: BF8CC07F
	v_max3_f32 v48, v64, v65, v48                              // 00000000EA00: D1D30030 04C28340
	v_max3_f32 v48, v66, v67, v48                              // 00000000EA08: D1D30030 04C28742
	v_max3_f32 v48, v68, v69, v48                              // 00000000EA10: D1D30030 04C28B44
	v_max3_f32 v48, v70, v71, v48                              // 00000000EA18: D1D30030 04C28F46
	v_max3_f32 v48, v72, v73, v48                              // 00000000EA20: D1D30030 04C29348
	v_max3_f32 v48, v74, v75, v48                              // 00000000EA28: D1D30030 04C2974A
	v_max3_f32 v48, v76, v77, v48                              // 00000000EA30: D1D30030 04C29B4C
	v_max3_f32 v48, v78, v79, v48                              // 00000000EA38: D1D30030 04C29F4E
	v_mov_b32_e32 v64, 0xff800000                              // 00000000EA40: 7E8002FF FF800000
	v_cmp_eq_u32_e64 s[40:41], v64, v11                        // 00000000EA48: D0CA0028 00021740
	s_nop 1                                                    // 00000000EA50: BF800001
	v_max_f32_e32 v15, v48, v11                                // 00000000EA54: 161E1730
	v_mul_f32_e32 v53, s64, v15                                // 00000000EA58: 0A6A1E40
	v_fma_f32 v112, v112, s64, -v53                            // 00000000EA5C: D1CB0070 84D48170
	v_fma_f32 v113, v113, s64, -v53                            // 00000000EA64: D1CB0071 84D48171
	v_fma_f32 v114, v114, s64, -v53                            // 00000000EA6C: D1CB0072 84D48172
	v_fma_f32 v115, v115, s64, -v53                            // 00000000EA74: D1CB0073 84D48173
	v_fma_f32 v116, v116, s64, -v53                            // 00000000EA7C: D1CB0074 84D48174
	v_fma_f32 v117, v117, s64, -v53                            // 00000000EA84: D1CB0075 84D48175
	v_fma_f32 v118, v118, s64, -v53                            // 00000000EA8C: D1CB0076 84D48176
	v_fma_f32 v119, v119, s64, -v53                            // 00000000EA94: D1CB0077 84D48177
	v_fma_f32 v120, v120, s64, -v53                            // 00000000EA9C: D1CB0078 84D48178
	v_fma_f32 v121, v121, s64, -v53                            // 00000000EAA4: D1CB0079 84D48179
	v_fma_f32 v122, v122, s64, -v53                            // 00000000EAAC: D1CB007A 84D4817A
	v_fma_f32 v123, v123, s64, -v53                            // 00000000EAB4: D1CB007B 84D4817B
	v_fma_f32 v124, v124, s64, -v53                            // 00000000EABC: D1CB007C 84D4817C
	v_fma_f32 v125, v125, s64, -v53                            // 00000000EAC4: D1CB007D 84D4817D
	v_fma_f32 v126, v126, s64, -v53                            // 00000000EACC: D1CB007E 84D4817E
	v_fma_f32 v127, v127, s64, -v53                            // 00000000EAD4: D1CB007F 84D4817F
	v_exp_f32_e32 v112, v112                                   // 00000000EADC: 7EE04170
	v_exp_f32_e32 v113, v113                                   // 00000000EAE0: 7EE24171
	v_exp_f32_e32 v114, v114                                   // 00000000EAE4: 7EE44172
	v_exp_f32_e32 v115, v115                                   // 00000000EAE8: 7EE64173
	v_exp_f32_e32 v116, v116                                   // 00000000EAEC: 7EE84174
	v_exp_f32_e32 v117, v117                                   // 00000000EAF0: 7EEA4175
	v_exp_f32_e32 v118, v118                                   // 00000000EAF4: 7EEC4176
	v_exp_f32_e32 v119, v119                                   // 00000000EAF8: 7EEE4177
	v_exp_f32_e32 v120, v120                                   // 00000000EAFC: 7EF04178
	v_exp_f32_e32 v121, v121                                   // 00000000EB00: 7EF24179
	v_exp_f32_e32 v122, v122                                   // 00000000EB04: 7EF4417A
	v_exp_f32_e32 v123, v123                                   // 00000000EB08: 7EF6417B
	v_exp_f32_e32 v124, v124                                   // 00000000EB0C: 7EF8417C
	v_exp_f32_e32 v125, v125                                   // 00000000EB10: 7EFA417D
	v_exp_f32_e32 v126, v126                                   // 00000000EB14: 7EFC417E
	v_exp_f32_e32 v127, v127                                   // 00000000EB18: 7EFE417F
	v_mul_f32_dpp v240, v252, v112 quad_perm:[0,0,0,0] row_mask:0xf bank_mask:0xf// 00000000EB1C: 0BE0E0FA FF0000FC
	v_mul_f32_dpp v241, v252, v113 quad_perm:[1,1,1,1] row_mask:0xf bank_mask:0xf// 00000000EB24: 0BE2E2FA FF0055FC
	v_mul_f32_dpp v242, v252, v114 quad_perm:[2,2,2,2] row_mask:0xf bank_mask:0xf// 00000000EB2C: 0BE4E4FA FF00AAFC
	v_mul_f32_dpp v243, v252, v115 quad_perm:[3,3,3,3] row_mask:0xf bank_mask:0xf// 00000000EB34: 0BE6E6FA FF00FFFC
	v_mul_f32_dpp v244, v253, v116 quad_perm:[0,0,0,0] row_mask:0xf bank_mask:0xf// 00000000EB3C: 0BE8E8FA FF0000FD
	v_mul_f32_dpp v245, v253, v117 quad_perm:[1,1,1,1] row_mask:0xf bank_mask:0xf// 00000000EB44: 0BEAEAFA FF0055FD
	v_mul_f32_dpp v246, v253, v118 quad_perm:[2,2,2,2] row_mask:0xf bank_mask:0xf// 00000000EB4C: 0BECECFA FF00AAFD
	v_mul_f32_dpp v247, v253, v119 quad_perm:[3,3,3,3] row_mask:0xf bank_mask:0xf// 00000000EB54: 0BEEEEFA FF00FFFD
	v_mul_f32_dpp v248, v254, v120 quad_perm:[0,0,0,0] row_mask:0xf bank_mask:0xf// 00000000EB5C: 0BF0F0FA FF0000FE
	v_mul_f32_dpp v249, v254, v121 quad_perm:[1,1,1,1] row_mask:0xf bank_mask:0xf// 00000000EB64: 0BF2F2FA FF0055FE
	v_mul_f32_dpp v250, v254, v122 quad_perm:[2,2,2,2] row_mask:0xf bank_mask:0xf// 00000000EB6C: 0BF4F4FA FF00AAFE
	v_mul_f32_dpp v251, v254, v123 quad_perm:[3,3,3,3] row_mask:0xf bank_mask:0xf// 00000000EB74: 0BF6F6FA FF00FFFE
	v_mul_f32_dpp v252, v255, v124 quad_perm:[0,0,0,0] row_mask:0xf bank_mask:0xf// 00000000EB7C: 0BF8F8FA FF0000FF
	v_mul_f32_dpp v253, v255, v125 quad_perm:[1,1,1,1] row_mask:0xf bank_mask:0xf// 00000000EB84: 0BFAFAFA FF0055FF
	v_mul_f32_dpp v254, v255, v126 quad_perm:[2,2,2,2] row_mask:0xf bank_mask:0xf// 00000000EB8C: 0BFCFCFA FF00AAFF
	v_mul_f32_dpp v255, v255, v127 quad_perm:[3,3,3,3] row_mask:0xf bank_mask:0xf// 00000000EB94: 0BFEFEFA FF00FFFF
	v_mov_b32_e32 v48, 0x358637bd                              // 00000000EB9C: 7E6002FF 358637BD
	v_max3_f32 v48, |v240|, |v241|, v48                        // 00000000EBA4: D1D30330 04C3E3F0
	v_max3_f32 v48, |v242|, |v243|, v48                        // 00000000EBAC: D1D30330 04C3E7F2
	v_max3_f32 v48, |v244|, |v245|, v48                        // 00000000EBB4: D1D30330 04C3EBF4
	v_max3_f32 v48, |v246|, |v247|, v48                        // 00000000EBBC: D1D30330 04C3EFF6
	v_max3_f32 v48, |v248|, |v249|, v48                        // 00000000EBC4: D1D30330 04C3F3F8
	v_max3_f32 v48, |v250|, |v251|, v48                        // 00000000EBCC: D1D30330 04C3F7FA
	v_max3_f32 v48, |v252|, |v253|, v48                        // 00000000EBD4: D1D30330 04C3FBFC
	v_max3_f32 v48, |v254|, |v255|, v48                        // 00000000EBDC: D1D30330 04C3FFFE
	ds_write_b32 v8, v48 offset:20992                          // 00000000EBE4: D81A5200 00003008
	v_sub_f32_e32 v49, v11, v15                                // 00000000EBEC: 04621F0B
	v_cndmask_b32_e64 v49, v49, 0, s[40:41]                    // 00000000EBF0: D1000031 00A10131
	v_mov_b32_e32 v11, v15                                     // 00000000EBF8: 7E16030F
	v_mul_f32_e32 v49, s64, v49                                // 00000000EBFC: 0A626240
	v_exp_f32_e32 v49, v49                                     // 00000000EC00: 7E624131
	s_waitcnt lgkmcnt(0)                                       // 00000000EC04: BF8CC07F
	s_barrier                                                  // 00000000EC08: BF8A0000
	ds_read_b32 v64, v7 offset:20992                           // 00000000EC0C: D86C5200 40000007
	ds_read_b32 v65, v7 offset:21056                           // 00000000EC14: D86C5240 41000007
	ds_read_b32 v66, v7 offset:21120                           // 00000000EC1C: D86C5280 42000007
	ds_read_b32 v67, v7 offset:21184                           // 00000000EC24: D86C52C0 43000007
	ds_read_b32 v68, v7 offset:21248                           // 00000000EC2C: D86C5300 44000007
	ds_read_b32 v69, v7 offset:21312                           // 00000000EC34: D86C5340 45000007
	ds_read_b32 v70, v7 offset:21376                           // 00000000EC3C: D86C5380 46000007
	ds_read_b32 v71, v7 offset:21440                           // 00000000EC44: D86C53C0 47000007
	ds_read_b32 v72, v7 offset:21504                           // 00000000EC4C: D86C5400 48000007
	ds_read_b32 v73, v7 offset:21568                           // 00000000EC54: D86C5440 49000007
	ds_read_b32 v74, v7 offset:21632                           // 00000000EC5C: D86C5480 4A000007
	ds_read_b32 v75, v7 offset:21696                           // 00000000EC64: D86C54C0 4B000007
	ds_read_b32 v76, v7 offset:21760                           // 00000000EC6C: D86C5500 4C000007
	ds_read_b32 v77, v7 offset:21824                           // 00000000EC74: D86C5540 4D000007
	ds_read_b32 v78, v7 offset:21888                           // 00000000EC7C: D86C5580 4E000007
	ds_read_b32 v79, v7 offset:21952                           // 00000000EC84: D86C55C0 4F000007
	v_mul_f32_e32 v38, v49, v38                                // 00000000EC8C: 0A4C4D31
	v_mov_b32_e32 v15, v112                                    // 00000000EC90: 7E1E0370
	v_add_f32_e32 v15, v113, v15                               // 00000000EC94: 021E1F71
	v_add_f32_e32 v15, v114, v15                               // 00000000EC98: 021E1F72
	v_add_f32_e32 v15, v115, v15                               // 00000000EC9C: 021E1F73
	v_add_f32_e32 v15, v116, v15                               // 00000000ECA0: 021E1F74
	v_add_f32_e32 v15, v117, v15                               // 00000000ECA4: 021E1F75
	v_add_f32_e32 v15, v118, v15                               // 00000000ECA8: 021E1F76
	v_add_f32_e32 v15, v119, v15                               // 00000000ECAC: 021E1F77
	v_add_f32_e32 v15, v120, v15                               // 00000000ECB0: 021E1F78
	v_add_f32_e32 v15, v121, v15                               // 00000000ECB4: 021E1F79
	v_add_f32_e32 v15, v122, v15                               // 00000000ECB8: 021E1F7A
	v_add_f32_e32 v15, v123, v15                               // 00000000ECBC: 021E1F7B
	v_add_f32_e32 v15, v124, v15                               // 00000000ECC0: 021E1F7C
	v_add_f32_e32 v15, v125, v15                               // 00000000ECC4: 021E1F7D
	v_add_f32_e32 v15, v126, v15                               // 00000000ECC8: 021E1F7E
	v_add_f32_e32 v15, v127, v15                               // 00000000ECCC: 021E1F7F
	v_add_f32_e32 v38, v15, v38                                // 00000000ECD0: 024C4D0F
	s_waitcnt lgkmcnt(0)                                       // 00000000ECD4: BF8CC07F
	v_max3_f32 v48, |v64|, |v65|, v48                          // 00000000ECD8: D1D30330 04C28340
	v_max3_f32 v48, |v66|, |v67|, v48                          // 00000000ECE0: D1D30330 04C28742
	v_max3_f32 v48, |v68|, |v69|, v48                          // 00000000ECE8: D1D30330 04C28B44
	v_max3_f32 v48, |v70|, |v71|, v48                          // 00000000ECF0: D1D30330 04C28F46
	v_max3_f32 v48, |v72|, |v73|, v48                          // 00000000ECF8: D1D30330 04C29348
	v_max3_f32 v48, |v74|, |v75|, v48                          // 00000000ED00: D1D30330 04C2974A
	v_max3_f32 v48, |v76|, |v77|, v48                          // 00000000ED08: D1D30330 04C29B4C
	v_max3_f32 v48, |v78|, |v79|, v48                          // 00000000ED10: D1D30330 04C29F4E
	s_nop 2                                                    // 00000000ED18: BF800002
	v_rcp_f32_e32 v48, v48                                     // 00000000ED1C: 7E604530
	s_nop 1                                                    // 00000000ED20: BF800001
	v_mul_f32_e32 v48, 0x43700000, v48                         // 00000000ED24: 0A6060FF 43700000
	v_mul_f32_e32 v112, v48, v240                              // 00000000ED2C: 0AE1E130
	v_mul_f32_e32 v113, v48, v241                              // 00000000ED30: 0AE3E330
	v_mul_f32_e32 v114, v48, v242                              // 00000000ED34: 0AE5E530
	v_mul_f32_e32 v115, v48, v243                              // 00000000ED38: 0AE7E730
	v_mul_f32_e32 v116, v48, v244                              // 00000000ED3C: 0AE9E930
	v_mul_f32_e32 v117, v48, v245                              // 00000000ED40: 0AEBEB30
	v_mul_f32_e32 v118, v48, v246                              // 00000000ED44: 0AEDED30
	v_mul_f32_e32 v119, v48, v247                              // 00000000ED48: 0AEFEF30
	v_mul_f32_e32 v120, v48, v248                              // 00000000ED4C: 0AF1F130
	v_mul_f32_e32 v121, v48, v249                              // 00000000ED50: 0AF3F330
	v_mul_f32_e32 v122, v48, v250                              // 00000000ED54: 0AF5F530
	v_mul_f32_e32 v123, v48, v251                              // 00000000ED58: 0AF7F730
	v_mul_f32_e32 v124, v48, v252                              // 00000000ED5C: 0AF9F930
	v_mul_f32_e32 v125, v48, v253                              // 00000000ED60: 0AFBFB30
	v_mul_f32_e32 v126, v48, v254                              // 00000000ED64: 0AFDFD30
	v_mul_f32_e32 v127, v48, v255                              // 00000000ED68: 0AFFFF30
	v_cvt_pk_fp8_f32 v112, v112, v113                          // 00000000ED6C: D2A20070 0002E370
	v_cvt_pk_fp8_f32 v112, v114, v115 op_sel:[0,0,1]           // 00000000ED74: D2A24070 0002E772
	v_cvt_pk_fp8_f32 v113, v116, v117                          // 00000000ED7C: D2A20071 0002EB74
	v_cvt_pk_fp8_f32 v113, v118, v119 op_sel:[0,0,1]           // 00000000ED84: D2A24071 0002EF76
	v_cvt_pk_fp8_f32 v114, v120, v121                          // 00000000ED8C: D2A20072 0002F378
	v_cvt_pk_fp8_f32 v114, v122, v123 op_sel:[0,0,1]           // 00000000ED94: D2A24072 0002F77A
	v_cvt_pk_fp8_f32 v115, v124, v125                          // 00000000ED9C: D2A20073 0002FB7C
	v_cvt_pk_fp8_f32 v115, v126, v127 op_sel:[0,0,1]           // 00000000EDA4: D2A24073 0002FF7E
	ds_write_b32 v10, v112 offset:25088                        // 00000000EDAC: D81A6200 0000700A
	ds_write_b32 v10, v113 offset:26112                        // 00000000EDB4: D81A6600 0000710A
	ds_write_b32 v10, v114 offset:27136                        // 00000000EDBC: D81A6A00 0000720A
	ds_write_b32 v10, v115 offset:28160                        // 00000000EDC4: D81A6E00 0000730A
	v_add_f32_e32 v208, v208, v176                             // 00000000EDCC: 03A161D0
	v_add_f32_e32 v209, v209, v177                             // 00000000EDD0: 03A363D1
	v_add_f32_e32 v210, v210, v178                             // 00000000EDD4: 03A565D2
	v_add_f32_e32 v211, v211, v179                             // 00000000EDD8: 03A767D3
	v_add_f32_e32 v212, v212, v180                             // 00000000EDDC: 03A969D4
	v_add_f32_e32 v213, v213, v181                             // 00000000EDE0: 03AB6BD5
	v_add_f32_e32 v214, v214, v182                             // 00000000EDE4: 03AD6DD6
	v_add_f32_e32 v215, v215, v183                             // 00000000EDE8: 03AF6FD7
	v_rcp_f32_e32 v44, v48                                     // 00000000EDEC: 7E584530
	s_waitcnt lgkmcnt(0)                                       // 00000000EDF0: BF8CC07F
	s_barrier                                                  // 00000000EDF4: BF8A0000
	ds_read_b64 v[112:113], v9 offset:25088                    // 00000000EDF8: D8EC6200 70000009
	ds_read_b64 v[114:115], v9 offset:25216                    // 00000000EE00: D8EC6280 72000009
	ds_read_b64 v[116:117], v9 offset:26112                    // 00000000EE08: D8EC6600 74000009
	ds_read_b64 v[118:119], v9 offset:26240                    // 00000000EE10: D8EC6680 76000009
	ds_read_b64 v[120:121], v9 offset:27136                    // 00000000EE18: D8EC6A00 78000009
	ds_read_b64 v[122:123], v9 offset:27264                    // 00000000EE20: D8EC6A80 7A000009
	ds_read_b64 v[124:125], v9 offset:28160                    // 00000000EE28: D8EC6E00 7C000009
	ds_read_b64 v[126:127], v9 offset:28288                    // 00000000EE30: D8EC6E80 7E000009
	v_mov_b32_dpp v64, v43 row_shr:4 row_mask:0xf bank_mask:0xf// 00000000EE38: 7E8002FA FF01142B
	v_mov_b32_dpp v65, v43 row_shl:4 row_mask:0xf bank_mask:0xf// 00000000EE40: 7E8202FA FF01042B
	v_cndmask_b32_e64 v248, v43, v64, s[44:45]                 // 00000000EE48: D10000F8 00B2812B
	v_cndmask_b32_e64 v249, v65, v43, s[44:45]                 // 00000000EE50: D10000F9 00B25741
	v_mov_b32_dpp v64, v248 row_shr:8 row_mask:0xf bank_mask:0xf// 00000000EE58: 7E8002FA FF0118F8
	v_mov_b32_dpp v65, v248 row_shl:8 row_mask:0xf bank_mask:0xf// 00000000EE60: 7E8202FA FF0108F8
	v_mov_b32_dpp v66, v249 row_shr:8 row_mask:0xf bank_mask:0xf// 00000000EE68: 7E8402FA FF0118F9
	v_mov_b32_dpp v67, v249 row_shl:8 row_mask:0xf bank_mask:0xf// 00000000EE70: 7E8602FA FF0108F9
	v_mov_b32_e32 v68, v248                                    // 00000000EE78: 7E8803F8
	v_mov_b32_e32 v69, v249                                    // 00000000EE7C: 7E8A03F9
	v_cndmask_b32_e64 v248, v68, v64, s[42:43]                 // 00000000EE80: D10000F8 00AA8144
	v_cndmask_b32_e64 v250, v68, v65, s[78:79]                 // 00000000EE88: D10000FA 013A8344
	v_cndmask_b32_e64 v249, v69, v66, s[42:43]                 // 00000000EE90: D10000F9 00AA8545
	v_cndmask_b32_e64 v251, v69, v67, s[78:79]                 // 00000000EE98: D10000FB 013A8745
	v_mov_b32_dpp v64, v58 row_shr:4 row_mask:0xf bank_mask:0xf// 00000000EEA0: 7E8002FA FF01143A
	v_mov_b32_dpp v65, v58 row_shl:4 row_mask:0xf bank_mask:0xf// 00000000EEA8: 7E8202FA FF01043A
	v_cndmask_b32_e64 v252, v58, v64, s[44:45]                 // 00000000EEB0: D10000FC 00B2813A
	v_cndmask_b32_e64 v253, v65, v58, s[44:45]                 // 00000000EEB8: D10000FD 00B27541
	v_mov_b32_dpp v64, v252 row_shr:8 row_mask:0xf bank_mask:0xf// 00000000EEC0: 7E8002FA FF0118FC
	v_mov_b32_dpp v65, v252 row_shl:8 row_mask:0xf bank_mask:0xf// 00000000EEC8: 7E8202FA FF0108FC
	v_mov_b32_dpp v66, v253 row_shr:8 row_mask:0xf bank_mask:0xf// 00000000EED0: 7E8402FA FF0118FD
	v_mov_b32_dpp v67, v253 row_shl:8 row_mask:0xf bank_mask:0xf// 00000000EED8: 7E8602FA FF0108FD
	v_mov_b32_e32 v68, v252                                    // 00000000EEE0: 7E8803FC
	v_mov_b32_e32 v69, v253                                    // 00000000EEE4: 7E8A03FD
	v_cndmask_b32_e64 v252, v68, v64, s[42:43]                 // 00000000EEE8: D10000FC 00AA8144
	v_cndmask_b32_e64 v254, v68, v65, s[78:79]                 // 00000000EEF0: D10000FE 013A8344
	v_cndmask_b32_e64 v253, v69, v66, s[42:43]                 // 00000000EEF8: D10000FD 00AA8545
	v_cndmask_b32_e64 v255, v69, v67, s[78:79]                 // 00000000EF00: D10000FF 013A8745
	v_mul_f32_e32 v128, v19, v128                              // 00000000EF08: 0B010113
	v_mul_f32_e32 v129, v19, v129                              // 00000000EF0C: 0B030313
	v_mul_f32_e32 v130, v19, v130                              // 00000000EF10: 0B050513
	v_mul_f32_e32 v131, v19, v131                              // 00000000EF14: 0B070713
	v_mul_f32_e32 v132, v19, v132                              // 00000000EF18: 0B090913
	v_mul_f32_e32 v133, v19, v133                              // 00000000EF1C: 0B0B0B13
	v_mul_f32_e32 v134, v19, v134                              // 00000000EF20: 0B0D0D13
	v_mul_f32_e32 v135, v19, v135                              // 00000000EF24: 0B0F0F13
	v_mul_f32_e32 v136, v19, v136                              // 00000000EF28: 0B111113
	v_mul_f32_e32 v137, v19, v137                              // 00000000EF2C: 0B131313
	v_mul_f32_e32 v138, v19, v138                              // 00000000EF30: 0B151513
	v_mul_f32_e32 v139, v19, v139                              // 00000000EF34: 0B171713
	v_mul_f32_e32 v140, v19, v140                              // 00000000EF38: 0B191913
	v_mul_f32_e32 v141, v19, v141                              // 00000000EF3C: 0B1B1B13
	v_mul_f32_e32 v142, v19, v142                              // 00000000EF40: 0B1D1D13
	v_mul_f32_e32 v143, v19, v143                              // 00000000EF44: 0B1F1F13
	v_mul_f32_dpp v128, v248, v128 quad_perm:[0,0,0,0] row_mask:0xf bank_mask:0xf// 00000000EF48: 0B0100FA FF0000F8
	v_mul_f32_dpp v129, v248, v129 quad_perm:[1,1,1,1] row_mask:0xf bank_mask:0xf// 00000000EF50: 0B0302FA FF0055F8
	v_mul_f32_dpp v130, v248, v130 quad_perm:[2,2,2,2] row_mask:0xf bank_mask:0xf// 00000000EF58: 0B0504FA FF00AAF8
	v_mul_f32_dpp v131, v248, v131 quad_perm:[3,3,3,3] row_mask:0xf bank_mask:0xf// 00000000EF60: 0B0706FA FF00FFF8
	v_mul_f32_dpp v132, v249, v132 quad_perm:[0,0,0,0] row_mask:0xf bank_mask:0xf// 00000000EF68: 0B0908FA FF0000F9
	v_mul_f32_dpp v133, v249, v133 quad_perm:[1,1,1,1] row_mask:0xf bank_mask:0xf// 00000000EF70: 0B0B0AFA FF0055F9
	v_mul_f32_dpp v134, v249, v134 quad_perm:[2,2,2,2] row_mask:0xf bank_mask:0xf// 00000000EF78: 0B0D0CFA FF00AAF9
	v_mul_f32_dpp v135, v249, v135 quad_perm:[3,3,3,3] row_mask:0xf bank_mask:0xf// 00000000EF80: 0B0F0EFA FF00FFF9
	v_mul_f32_dpp v136, v250, v136 quad_perm:[0,0,0,0] row_mask:0xf bank_mask:0xf// 00000000EF88: 0B1110FA FF0000FA
	v_mul_f32_dpp v137, v250, v137 quad_perm:[1,1,1,1] row_mask:0xf bank_mask:0xf// 00000000EF90: 0B1312FA FF0055FA
	v_mul_f32_dpp v138, v250, v138 quad_perm:[2,2,2,2] row_mask:0xf bank_mask:0xf// 00000000EF98: 0B1514FA FF00AAFA
	v_mul_f32_dpp v139, v250, v139 quad_perm:[3,3,3,3] row_mask:0xf bank_mask:0xf// 00000000EFA0: 0B1716FA FF00FFFA
	v_mul_f32_dpp v140, v251, v140 quad_perm:[0,0,0,0] row_mask:0xf bank_mask:0xf// 00000000EFA8: 0B1918FA FF0000FB
	v_mul_f32_dpp v141, v251, v141 quad_perm:[1,1,1,1] row_mask:0xf bank_mask:0xf// 00000000EFB0: 0B1B1AFA FF0055FB
	v_mul_f32_dpp v142, v251, v142 quad_perm:[2,2,2,2] row_mask:0xf bank_mask:0xf// 00000000EFB8: 0B1D1CFA FF00AAFB
	v_mul_f32_dpp v143, v251, v143 quad_perm:[3,3,3,3] row_mask:0xf bank_mask:0xf// 00000000EFC0: 0B1F1EFA FF00FFFB
	s_cmp_le_i32 s90, s89                                      // 00000000EFC8: BF05595A
	s_cbranch_scc1 label_33E5                                  // 00000000EFCC: BF850071
	v_mov_b32_e32 v66, 0xff800000                              // 00000000EFD0: 7E8402FF FF800000
	s_mov_b32 s60, s90                                         // 00000000EFD8: BEBC005A
	s_add_u32 s61, s89, 0xff                                   // 00000000EFDC: 803DFF59 000000FF
	v_mov_b32_e32 v64, s61                                     // 00000000EFE4: 7E80023D
	v_lshrrev_b32_e32 v240, 4, v0                              // 00000000EFE8: 21E00084
	v_mul_i32_i24_e32 v240, 4, v240                            // 00000000EFEC: 0DE1E084
	v_add_u32_e32 v240, s60, v240                              // 00000000EFF0: 69E1E03C
	s_mov_b32 s61, 1                                           // 00000000EFF4: BEBD0081
	s_mul_i32 s60, 16, s7                                      // 00000000EFF8: 923C0790
	v_sub_u32_e64 v240, v240, s61                              // 00000000EFFC: D13500F0 00007BF0
	v_add_u32_e32 v240, s60, v240                              // 00000000F004: 69E1E03C
	v_add_u32_e32 v241, 1, v240                                // 00000000F008: 69E3E081
	v_add_u32_e32 v242, 2, v240                                // 00000000F00C: 69E5E082
	v_add_u32_e32 v243, 3, v240                                // 00000000F010: 69E7E083
	v_cmp_le_u32_e64 s[40:41], v240, v64                       // 00000000F014: D0CB0028 000281F0
	v_add_u32_e32 v240, 64, v240                               // 00000000F01C: 69E1E0C0
	s_nop 0                                                    // 00000000F020: BF800000
	v_cndmask_b32_e64 v128, v66, v128, s[40:41]                // 00000000F024: D1000080 00A30142
	v_cmp_le_u32_e64 s[40:41], v241, v64                       // 00000000F02C: D0CB0028 000281F1
	v_add_u32_e32 v241, 64, v241                               // 00000000F034: 69E3E2C0
	s_nop 0                                                    // 00000000F038: BF800000
	v_cndmask_b32_e64 v129, v66, v129, s[40:41]                // 00000000F03C: D1000081 00A30342
	v_cmp_le_u32_e64 s[40:41], v242, v64                       // 00000000F044: D0CB0028 000281F2
	v_add_u32_e32 v242, 64, v242                               // 00000000F04C: 69E5E4C0
	s_nop 0                                                    // 00000000F050: BF800000
	v_cndmask_b32_e64 v130, v66, v130, s[40:41]                // 00000000F054: D1000082 00A30542
	v_cmp_le_u32_e64 s[40:41], v243, v64                       // 00000000F05C: D0CB0028 000281F3
	v_add_u32_e32 v243, 64, v243                               // 00000000F064: 69E7E6C0
	s_nop 0                                                    // 00000000F068: BF800000
	v_cndmask_b32_e64 v131, v66, v131, s[40:41]                // 00000000F06C: D1000083 00A30742
	v_cmp_le_u32_e64 s[40:41], v240, v64                       // 00000000F074: D0CB0028 000281F0
	v_add_u32_e32 v240, 64, v240                               // 00000000F07C: 69E1E0C0
	s_nop 0                                                    // 00000000F080: BF800000
	v_cndmask_b32_e64 v132, v66, v132, s[40:41]                // 00000000F084: D1000084 00A30942
	v_cmp_le_u32_e64 s[40:41], v241, v64                       // 00000000F08C: D0CB0028 000281F1
	v_add_u32_e32 v241, 64, v241                               // 00000000F094: 69E3E2C0
	s_nop 0                                                    // 00000000F098: BF800000
	v_cndmask_b32_e64 v133, v66, v133, s[40:41]                // 00000000F09C: D1000085 00A30B42
	v_cmp_le_u32_e64 s[40:41], v242, v64                       // 00000000F0A4: D0CB0028 000281F2
	v_add_u32_e32 v242, 64, v242                               // 00000000F0AC: 69E5E4C0
	s_nop 0                                                    // 00000000F0B0: BF800000
	v_cndmask_b32_e64 v134, v66, v134, s[40:41]                // 00000000F0B4: D1000086 00A30D42
	v_cmp_le_u32_e64 s[40:41], v243, v64                       // 00000000F0BC: D0CB0028 000281F3
	v_add_u32_e32 v243, 64, v243                               // 00000000F0C4: 69E7E6C0
	s_nop 0                                                    // 00000000F0C8: BF800000
	v_cndmask_b32_e64 v135, v66, v135, s[40:41]                // 00000000F0CC: D1000087 00A30F42
	v_cmp_le_u32_e64 s[40:41], v240, v64                       // 00000000F0D4: D0CB0028 000281F0
	v_add_u32_e32 v240, 64, v240                               // 00000000F0DC: 69E1E0C0
	s_nop 0                                                    // 00000000F0E0: BF800000
	v_cndmask_b32_e64 v136, v66, v136, s[40:41]                // 00000000F0E4: D1000088 00A31142
	v_cmp_le_u32_e64 s[40:41], v241, v64                       // 00000000F0EC: D0CB0028 000281F1
	v_add_u32_e32 v241, 64, v241                               // 00000000F0F4: 69E3E2C0
	s_nop 0                                                    // 00000000F0F8: BF800000
	v_cndmask_b32_e64 v137, v66, v137, s[40:41]                // 00000000F0FC: D1000089 00A31342
	v_cmp_le_u32_e64 s[40:41], v242, v64                       // 00000000F104: D0CB0028 000281F2
	v_add_u32_e32 v242, 64, v242                               // 00000000F10C: 69E5E4C0
	s_nop 0                                                    // 00000000F110: BF800000
	v_cndmask_b32_e64 v138, v66, v138, s[40:41]                // 00000000F114: D100008A 00A31542
	v_cmp_le_u32_e64 s[40:41], v243, v64                       // 00000000F11C: D0CB0028 000281F3
	v_add_u32_e32 v243, 64, v243                               // 00000000F124: 69E7E6C0
	s_nop 0                                                    // 00000000F128: BF800000
	v_cndmask_b32_e64 v139, v66, v139, s[40:41]                // 00000000F12C: D100008B 00A31742
	v_cmp_le_u32_e64 s[40:41], v240, v64                       // 00000000F134: D0CB0028 000281F0
	v_add_u32_e32 v240, 64, v240                               // 00000000F13C: 69E1E0C0
	s_nop 0                                                    // 00000000F140: BF800000
	v_cndmask_b32_e64 v140, v66, v140, s[40:41]                // 00000000F144: D100008C 00A31942
	v_cmp_le_u32_e64 s[40:41], v241, v64                       // 00000000F14C: D0CB0028 000281F1
	v_add_u32_e32 v241, 64, v241                               // 00000000F154: 69E3E2C0
	s_nop 0                                                    // 00000000F158: BF800000
	v_cndmask_b32_e64 v141, v66, v141, s[40:41]                // 00000000F15C: D100008D 00A31B42
	v_cmp_le_u32_e64 s[40:41], v242, v64                       // 00000000F164: D0CB0028 000281F2
	v_add_u32_e32 v242, 64, v242                               // 00000000F16C: 69E5E4C0
	s_nop 0                                                    // 00000000F170: BF800000
	v_cndmask_b32_e64 v142, v66, v142, s[40:41]                // 00000000F174: D100008E 00A31D42
	v_cmp_le_u32_e64 s[40:41], v243, v64                       // 00000000F17C: D0CB0028 000281F3
	v_add_u32_e32 v243, 64, v243                               // 00000000F184: 69E7E6C0
	s_nop 0                                                    // 00000000F188: BF800000
	v_cndmask_b32_e64 v143, v66, v143, s[40:41]                // 00000000F18C: D100008F 00A31F42

000000000000f194 <label_33E5>:
	s_add_u32 s90, s91, s90                                    // 00000000F194: 805A5A5B
	s_and_b32 s60, s72, 0xff                                   // 00000000F198: 863CFF48 000000FF
	v_mov_b32_e32 v65, s60                                     // 00000000F1A0: 7E82023C
	v_lshrrev_b32_e32 v240, 4, v0                              // 00000000F1A4: 21E00084
	v_mul_i32_i24_e32 v240, 4, v240                            // 00000000F1A8: 0DE1E084
	s_mul_i32 s60, s7, 16                                      // 00000000F1AC: 923C9007
	v_add_u32_e32 v240, s60, v240                              // 00000000F1B0: 69E1E03C
	v_add_u32_e32 v241, 1, v240                                // 00000000F1B4: 69E3E081
	v_add_u32_e32 v242, 2, v240                                // 00000000F1B8: 69E5E082
	v_add_u32_e32 v243, 3, v240                                // 00000000F1BC: 69E7E083
	v_mov_b32_e32 v64, 0xff800000                              // 00000000F1C0: 7E8002FF FF800000
	v_cmp_lt_u32_e64 s[40:41], v240, v65                       // 00000000F1C8: D0C90028 000283F0
	v_add_u32_e32 v240, 64, v240                               // 00000000F1D0: 69E1E0C0
	s_nop 0                                                    // 00000000F1D4: BF800000
	v_cndmask_b32_e64 v128, v64, v128, s[40:41]                // 00000000F1D8: D1000080 00A30140
	v_cmp_lt_u32_e64 s[40:41], v241, v65                       // 00000000F1E0: D0C90028 000283F1
	v_add_u32_e32 v241, 64, v241                               // 00000000F1E8: 69E3E2C0
	s_nop 0                                                    // 00000000F1EC: BF800000
	v_cndmask_b32_e64 v129, v64, v129, s[40:41]                // 00000000F1F0: D1000081 00A30340
	v_cmp_lt_u32_e64 s[40:41], v242, v65                       // 00000000F1F8: D0C90028 000283F2
	v_add_u32_e32 v242, 64, v242                               // 00000000F200: 69E5E4C0
	s_nop 0                                                    // 00000000F204: BF800000
	v_cndmask_b32_e64 v130, v64, v130, s[40:41]                // 00000000F208: D1000082 00A30540
	v_cmp_lt_u32_e64 s[40:41], v243, v65                       // 00000000F210: D0C90028 000283F3
	v_add_u32_e32 v243, 64, v243                               // 00000000F218: 69E7E6C0
	s_nop 0                                                    // 00000000F21C: BF800000
	v_cndmask_b32_e64 v131, v64, v131, s[40:41]                // 00000000F220: D1000083 00A30740
	v_cmp_lt_u32_e64 s[40:41], v240, v65                       // 00000000F228: D0C90028 000283F0
	v_add_u32_e32 v240, 64, v240                               // 00000000F230: 69E1E0C0
	s_nop 0                                                    // 00000000F234: BF800000
	v_cndmask_b32_e64 v132, v64, v132, s[40:41]                // 00000000F238: D1000084 00A30940
	v_cmp_lt_u32_e64 s[40:41], v241, v65                       // 00000000F240: D0C90028 000283F1
	v_add_u32_e32 v241, 64, v241                               // 00000000F248: 69E3E2C0
	s_nop 0                                                    // 00000000F24C: BF800000
	v_cndmask_b32_e64 v133, v64, v133, s[40:41]                // 00000000F250: D1000085 00A30B40
	v_cmp_lt_u32_e64 s[40:41], v242, v65                       // 00000000F258: D0C90028 000283F2
	v_add_u32_e32 v242, 64, v242                               // 00000000F260: 69E5E4C0
	s_nop 0                                                    // 00000000F264: BF800000
	v_cndmask_b32_e64 v134, v64, v134, s[40:41]                // 00000000F268: D1000086 00A30D40
	v_cmp_lt_u32_e64 s[40:41], v243, v65                       // 00000000F270: D0C90028 000283F3
	v_add_u32_e32 v243, 64, v243                               // 00000000F278: 69E7E6C0
	s_nop 0                                                    // 00000000F27C: BF800000
	v_cndmask_b32_e64 v135, v64, v135, s[40:41]                // 00000000F280: D1000087 00A30F40
	v_cmp_lt_u32_e64 s[40:41], v240, v65                       // 00000000F288: D0C90028 000283F0
	v_add_u32_e32 v240, 64, v240                               // 00000000F290: 69E1E0C0
	s_nop 0                                                    // 00000000F294: BF800000
	v_cndmask_b32_e64 v136, v64, v136, s[40:41]                // 00000000F298: D1000088 00A31140
	v_cmp_lt_u32_e64 s[40:41], v241, v65                       // 00000000F2A0: D0C90028 000283F1
	v_add_u32_e32 v241, 64, v241                               // 00000000F2A8: 69E3E2C0
	s_nop 0                                                    // 00000000F2AC: BF800000
	v_cndmask_b32_e64 v137, v64, v137, s[40:41]                // 00000000F2B0: D1000089 00A31340
	v_cmp_lt_u32_e64 s[40:41], v242, v65                       // 00000000F2B8: D0C90028 000283F2
	v_add_u32_e32 v242, 64, v242                               // 00000000F2C0: 69E5E4C0
	s_nop 0                                                    // 00000000F2C4: BF800000
	v_cndmask_b32_e64 v138, v64, v138, s[40:41]                // 00000000F2C8: D100008A 00A31540
	v_cmp_lt_u32_e64 s[40:41], v243, v65                       // 00000000F2D0: D0C90028 000283F3
	v_add_u32_e32 v243, 64, v243                               // 00000000F2D8: 69E7E6C0
	s_nop 0                                                    // 00000000F2DC: BF800000
	v_cndmask_b32_e64 v139, v64, v139, s[40:41]                // 00000000F2E0: D100008B 00A31740
	v_cmp_lt_u32_e64 s[40:41], v240, v65                       // 00000000F2E8: D0C90028 000283F0
	v_add_u32_e32 v240, 64, v240                               // 00000000F2F0: 69E1E0C0
	s_nop 0                                                    // 00000000F2F4: BF800000
	v_cndmask_b32_e64 v140, v64, v140, s[40:41]                // 00000000F2F8: D100008C 00A31940
	v_cmp_lt_u32_e64 s[40:41], v241, v65                       // 00000000F300: D0C90028 000283F1
	v_add_u32_e32 v241, 64, v241                               // 00000000F308: 69E3E2C0
	s_nop 0                                                    // 00000000F30C: BF800000
	v_cndmask_b32_e64 v141, v64, v141, s[40:41]                // 00000000F310: D100008D 00A31B40
	v_cmp_lt_u32_e64 s[40:41], v242, v65                       // 00000000F318: D0C90028 000283F2
	v_add_u32_e32 v242, 64, v242                               // 00000000F320: 69E5E4C0
	s_nop 0                                                    // 00000000F324: BF800000
	v_cndmask_b32_e64 v142, v64, v142, s[40:41]                // 00000000F328: D100008E 00A31D40
	v_cmp_lt_u32_e64 s[40:41], v243, v65                       // 00000000F330: D0C90028 000283F3
	v_add_u32_e32 v243, 64, v243                               // 00000000F338: 69E7E6C0
	s_nop 0                                                    // 00000000F33C: BF800000
	v_cndmask_b32_e64 v143, v64, v143, s[40:41]                // 00000000F340: D100008F 00A31F40
	v_mov_b32_e32 v48, v128                                    // 00000000F348: 7E600380
	v_max3_f32 v48, v128, v129, v48                            // 00000000F34C: D1D30030 04C30380
	v_max3_f32 v48, v130, v131, v48                            // 00000000F354: D1D30030 04C30782
	v_max3_f32 v48, v132, v133, v48                            // 00000000F35C: D1D30030 04C30B84
	v_max3_f32 v48, v134, v135, v48                            // 00000000F364: D1D30030 04C30F86
	v_max3_f32 v48, v136, v137, v48                            // 00000000F36C: D1D30030 04C31388
	v_max3_f32 v48, v138, v139, v48                            // 00000000F374: D1D30030 04C3178A
	v_max3_f32 v48, v140, v141, v48                            // 00000000F37C: D1D30030 04C31B8C
	v_max3_f32 v48, v142, v143, v48                            // 00000000F384: D1D30030 04C31F8E
	ds_write_b32 v8, v48 offset:16896                          // 00000000F38C: D81A4200 00003008
	v_mul_f32_e32 v216, v50, v216                              // 00000000F394: 0BB1B132
	v_mul_f32_e32 v217, v50, v217                              // 00000000F398: 0BB3B332
	v_mul_f32_e32 v218, v50, v218                              // 00000000F39C: 0BB5B532
	v_mul_f32_e32 v219, v50, v219                              // 00000000F3A0: 0BB7B732
	v_mul_f32_e32 v220, v50, v220                              // 00000000F3A4: 0BB9B932
	v_mul_f32_e32 v221, v50, v221                              // 00000000F3A8: 0BBBBB32
	v_mul_f32_e32 v222, v50, v222                              // 00000000F3AC: 0BBDBD32
	v_mul_f32_e32 v223, v50, v223                              // 00000000F3B0: 0BBFBF32
	s_waitcnt lgkmcnt(0)                                       // 00000000F3B4: BF8CC07F
	s_barrier                                                  // 00000000F3B8: BF8A0000
	ds_read_b32 v64, v7 offset:16896                           // 00000000F3BC: D86C4200 40000007
	ds_read_b32 v65, v7 offset:16960                           // 00000000F3C4: D86C4240 41000007
	ds_read_b32 v66, v7 offset:17024                           // 00000000F3CC: D86C4280 42000007
	ds_read_b32 v67, v7 offset:17088                           // 00000000F3D4: D86C42C0 43000007
	ds_read_b32 v68, v7 offset:17152                           // 00000000F3DC: D86C4300 44000007
	ds_read_b32 v69, v7 offset:17216                           // 00000000F3E4: D86C4340 45000007
	ds_read_b32 v70, v7 offset:17280                           // 00000000F3EC: D86C4380 46000007
	ds_read_b32 v71, v7 offset:17344                           // 00000000F3F4: D86C43C0 47000007
	ds_read_b32 v72, v7 offset:17408                           // 00000000F3FC: D86C4400 48000007
	ds_read_b32 v73, v7 offset:17472                           // 00000000F404: D86C4440 49000007
	ds_read_b32 v74, v7 offset:17536                           // 00000000F40C: D86C4480 4A000007
	ds_read_b32 v75, v7 offset:17600                           // 00000000F414: D86C44C0 4B000007
	ds_read_b32 v76, v7 offset:17664                           // 00000000F41C: D86C4500 4C000007
	ds_read_b32 v77, v7 offset:17728                           // 00000000F424: D86C4540 4D000007
	ds_read_b32 v78, v7 offset:17792                           // 00000000F42C: D86C4580 4E000007
	ds_read_b32 v79, v7 offset:17856                           // 00000000F434: D86C45C0 4F000007
	v_mul_f32_e32 v184, v45, v184                              // 00000000F43C: 0B71712D
	v_mul_f32_e32 v185, v45, v185                              // 00000000F440: 0B73732D
	v_mul_f32_e32 v186, v45, v186                              // 00000000F444: 0B75752D
	v_mul_f32_e32 v187, v45, v187                              // 00000000F448: 0B77772D
	v_mul_f32_e32 v188, v45, v188                              // 00000000F44C: 0B79792D
	v_mul_f32_e32 v189, v45, v189                              // 00000000F450: 0B7B7B2D
	v_mul_f32_e32 v190, v45, v190                              // 00000000F454: 0B7D7D2D
	v_mul_f32_e32 v191, v45, v191                              // 00000000F458: 0B7F7F2D
	s_waitcnt lgkmcnt(0)                                       // 00000000F45C: BF8CC07F
	v_max3_f32 v48, v64, v65, v48                              // 00000000F460: D1D30030 04C28340
	v_max3_f32 v48, v66, v67, v48                              // 00000000F468: D1D30030 04C28742
	v_max3_f32 v48, v68, v69, v48                              // 00000000F470: D1D30030 04C28B44
	v_max3_f32 v48, v70, v71, v48                              // 00000000F478: D1D30030 04C28F46
	v_max3_f32 v48, v72, v73, v48                              // 00000000F480: D1D30030 04C29348
	v_max3_f32 v48, v74, v75, v48                              // 00000000F488: D1D30030 04C2974A
	v_max3_f32 v48, v76, v77, v48                              // 00000000F490: D1D30030 04C29B4C
	v_max3_f32 v48, v78, v79, v48                              // 00000000F498: D1D30030 04C29F4E
	v_mov_b32_e32 v64, 0xff800000                              // 00000000F4A0: 7E8002FF FF800000
	v_cmp_eq_u32_e64 s[40:41], v64, v12                        // 00000000F4A8: D0CA0028 00021940
	s_nop 1                                                    // 00000000F4B0: BF800001
	v_max_f32_e32 v15, v48, v12                                // 00000000F4B4: 161E1930
	v_mul_f32_e32 v53, s64, v15                                // 00000000F4B8: 0A6A1E40
	v_fma_f32 v128, v128, s64, -v53                            // 00000000F4BC: D1CB0080 84D48180
	v_fma_f32 v129, v129, s64, -v53                            // 00000000F4C4: D1CB0081 84D48181
	v_fma_f32 v130, v130, s64, -v53                            // 00000000F4CC: D1CB0082 84D48182
	v_fma_f32 v131, v131, s64, -v53                            // 00000000F4D4: D1CB0083 84D48183
	v_fma_f32 v132, v132, s64, -v53                            // 00000000F4DC: D1CB0084 84D48184
	v_fma_f32 v133, v133, s64, -v53                            // 00000000F4E4: D1CB0085 84D48185
	v_fma_f32 v134, v134, s64, -v53                            // 00000000F4EC: D1CB0086 84D48186
	v_fma_f32 v135, v135, s64, -v53                            // 00000000F4F4: D1CB0087 84D48187
	v_fma_f32 v136, v136, s64, -v53                            // 00000000F4FC: D1CB0088 84D48188
	v_fma_f32 v137, v137, s64, -v53                            // 00000000F504: D1CB0089 84D48189
	v_fma_f32 v138, v138, s64, -v53                            // 00000000F50C: D1CB008A 84D4818A
	v_fma_f32 v139, v139, s64, -v53                            // 00000000F514: D1CB008B 84D4818B
	v_fma_f32 v140, v140, s64, -v53                            // 00000000F51C: D1CB008C 84D4818C
	v_fma_f32 v141, v141, s64, -v53                            // 00000000F524: D1CB008D 84D4818D
	v_fma_f32 v142, v142, s64, -v53                            // 00000000F52C: D1CB008E 84D4818E
	v_fma_f32 v143, v143, s64, -v53                            // 00000000F534: D1CB008F 84D4818F
	v_exp_f32_e32 v128, v128                                   // 00000000F53C: 7F004180
	v_exp_f32_e32 v129, v129                                   // 00000000F540: 7F024181
	v_exp_f32_e32 v130, v130                                   // 00000000F544: 7F044182
	v_exp_f32_e32 v131, v131                                   // 00000000F548: 7F064183
	v_exp_f32_e32 v132, v132                                   // 00000000F54C: 7F084184
	v_exp_f32_e32 v133, v133                                   // 00000000F550: 7F0A4185
	v_exp_f32_e32 v134, v134                                   // 00000000F554: 7F0C4186
	v_exp_f32_e32 v135, v135                                   // 00000000F558: 7F0E4187
	v_exp_f32_e32 v136, v136                                   // 00000000F55C: 7F104188
	v_exp_f32_e32 v137, v137                                   // 00000000F560: 7F124189
	v_exp_f32_e32 v138, v138                                   // 00000000F564: 7F14418A
	v_exp_f32_e32 v139, v139                                   // 00000000F568: 7F16418B
	v_exp_f32_e32 v140, v140                                   // 00000000F56C: 7F18418C
	v_exp_f32_e32 v141, v141                                   // 00000000F570: 7F1A418D
	v_exp_f32_e32 v142, v142                                   // 00000000F574: 7F1C418E
	v_exp_f32_e32 v143, v143                                   // 00000000F578: 7F1E418F
	v_mul_f32_dpp v240, v252, v128 quad_perm:[0,0,0,0] row_mask:0xf bank_mask:0xf// 00000000F57C: 0BE100FA FF0000FC
	v_mul_f32_dpp v241, v252, v129 quad_perm:[1,1,1,1] row_mask:0xf bank_mask:0xf// 00000000F584: 0BE302FA FF0055FC
	v_mul_f32_dpp v242, v252, v130 quad_perm:[2,2,2,2] row_mask:0xf bank_mask:0xf// 00000000F58C: 0BE504FA FF00AAFC
	v_mul_f32_dpp v243, v252, v131 quad_perm:[3,3,3,3] row_mask:0xf bank_mask:0xf// 00000000F594: 0BE706FA FF00FFFC
	v_mul_f32_dpp v244, v253, v132 quad_perm:[0,0,0,0] row_mask:0xf bank_mask:0xf// 00000000F59C: 0BE908FA FF0000FD
	v_mul_f32_dpp v245, v253, v133 quad_perm:[1,1,1,1] row_mask:0xf bank_mask:0xf// 00000000F5A4: 0BEB0AFA FF0055FD
	v_mul_f32_dpp v246, v253, v134 quad_perm:[2,2,2,2] row_mask:0xf bank_mask:0xf// 00000000F5AC: 0BED0CFA FF00AAFD
	v_mul_f32_dpp v247, v253, v135 quad_perm:[3,3,3,3] row_mask:0xf bank_mask:0xf// 00000000F5B4: 0BEF0EFA FF00FFFD
	v_mul_f32_dpp v248, v254, v136 quad_perm:[0,0,0,0] row_mask:0xf bank_mask:0xf// 00000000F5BC: 0BF110FA FF0000FE
	v_mul_f32_dpp v249, v254, v137 quad_perm:[1,1,1,1] row_mask:0xf bank_mask:0xf// 00000000F5C4: 0BF312FA FF0055FE
	v_mul_f32_dpp v250, v254, v138 quad_perm:[2,2,2,2] row_mask:0xf bank_mask:0xf// 00000000F5CC: 0BF514FA FF00AAFE
	v_mul_f32_dpp v251, v254, v139 quad_perm:[3,3,3,3] row_mask:0xf bank_mask:0xf// 00000000F5D4: 0BF716FA FF00FFFE
	v_mul_f32_dpp v252, v255, v140 quad_perm:[0,0,0,0] row_mask:0xf bank_mask:0xf// 00000000F5DC: 0BF918FA FF0000FF
	v_mul_f32_dpp v253, v255, v141 quad_perm:[1,1,1,1] row_mask:0xf bank_mask:0xf// 00000000F5E4: 0BFB1AFA FF0055FF
	v_mul_f32_dpp v254, v255, v142 quad_perm:[2,2,2,2] row_mask:0xf bank_mask:0xf// 00000000F5EC: 0BFD1CFA FF00AAFF
	v_mul_f32_dpp v255, v255, v143 quad_perm:[3,3,3,3] row_mask:0xf bank_mask:0xf// 00000000F5F4: 0BFF1EFA FF00FFFF
	v_mov_b32_e32 v48, 0x358637bd                              // 00000000F5FC: 7E6002FF 358637BD
	v_max3_f32 v48, |v240|, |v241|, v48                        // 00000000F604: D1D30330 04C3E3F0
	v_max3_f32 v48, |v242|, |v243|, v48                        // 00000000F60C: D1D30330 04C3E7F2
	v_max3_f32 v48, |v244|, |v245|, v48                        // 00000000F614: D1D30330 04C3EBF4
	v_max3_f32 v48, |v246|, |v247|, v48                        // 00000000F61C: D1D30330 04C3EFF6
	v_max3_f32 v48, |v248|, |v249|, v48                        // 00000000F624: D1D30330 04C3F3F8
	v_max3_f32 v48, |v250|, |v251|, v48                        // 00000000F62C: D1D30330 04C3F7FA
	v_max3_f32 v48, |v252|, |v253|, v48                        // 00000000F634: D1D30330 04C3FBFC
	v_max3_f32 v48, |v254|, |v255|, v48                        // 00000000F63C: D1D30330 04C3FFFE
	ds_write_b32 v8, v48 offset:20992                          // 00000000F644: D81A5200 00003008
	v_sub_f32_e32 v50, v12, v15                                // 00000000F64C: 04641F0C
	v_cndmask_b32_e64 v50, v50, 0, s[40:41]                    // 00000000F650: D1000032 00A10132
	v_mov_b32_e32 v12, v15                                     // 00000000F658: 7E18030F
	v_mul_f32_e32 v50, s64, v50                                // 00000000F65C: 0A646440
	v_exp_f32_e32 v50, v50                                     // 00000000F660: 7E644132
	s_waitcnt lgkmcnt(0)                                       // 00000000F664: BF8CC07F
	s_barrier                                                  // 00000000F668: BF8A0000
	ds_read_b32 v64, v7 offset:20992                           // 00000000F66C: D86C5200 40000007
	ds_read_b32 v65, v7 offset:21056                           // 00000000F674: D86C5240 41000007
	ds_read_b32 v66, v7 offset:21120                           // 00000000F67C: D86C5280 42000007
	ds_read_b32 v67, v7 offset:21184                           // 00000000F684: D86C52C0 43000007
	ds_read_b32 v68, v7 offset:21248                           // 00000000F68C: D86C5300 44000007
	ds_read_b32 v69, v7 offset:21312                           // 00000000F694: D86C5340 45000007
	ds_read_b32 v70, v7 offset:21376                           // 00000000F69C: D86C5380 46000007
	ds_read_b32 v71, v7 offset:21440                           // 00000000F6A4: D86C53C0 47000007
	ds_read_b32 v72, v7 offset:21504                           // 00000000F6AC: D86C5400 48000007
	ds_read_b32 v73, v7 offset:21568                           // 00000000F6B4: D86C5440 49000007
	ds_read_b32 v74, v7 offset:21632                           // 00000000F6BC: D86C5480 4A000007
	ds_read_b32 v75, v7 offset:21696                           // 00000000F6C4: D86C54C0 4B000007
	ds_read_b32 v76, v7 offset:21760                           // 00000000F6CC: D86C5500 4C000007
	ds_read_b32 v77, v7 offset:21824                           // 00000000F6D4: D86C5540 4D000007
	ds_read_b32 v78, v7 offset:21888                           // 00000000F6DC: D86C5580 4E000007
	ds_read_b32 v79, v7 offset:21952                           // 00000000F6E4: D86C55C0 4F000007
	v_mul_f32_e32 v39, v50, v39                                // 00000000F6EC: 0A4E4F32
	v_mov_b32_e32 v15, v128                                    // 00000000F6F0: 7E1E0380
	v_add_f32_e32 v15, v129, v15                               // 00000000F6F4: 021E1F81
	v_add_f32_e32 v15, v130, v15                               // 00000000F6F8: 021E1F82
	v_add_f32_e32 v15, v131, v15                               // 00000000F6FC: 021E1F83
	v_add_f32_e32 v15, v132, v15                               // 00000000F700: 021E1F84
	v_add_f32_e32 v15, v133, v15                               // 00000000F704: 021E1F85
	v_add_f32_e32 v15, v134, v15                               // 00000000F708: 021E1F86
	v_add_f32_e32 v15, v135, v15                               // 00000000F70C: 021E1F87
	v_add_f32_e32 v15, v136, v15                               // 00000000F710: 021E1F88
	v_add_f32_e32 v15, v137, v15                               // 00000000F714: 021E1F89
	v_add_f32_e32 v15, v138, v15                               // 00000000F718: 021E1F8A
	v_add_f32_e32 v15, v139, v15                               // 00000000F71C: 021E1F8B
	v_add_f32_e32 v15, v140, v15                               // 00000000F720: 021E1F8C
	v_add_f32_e32 v15, v141, v15                               // 00000000F724: 021E1F8D
	v_add_f32_e32 v15, v142, v15                               // 00000000F728: 021E1F8E
	v_add_f32_e32 v15, v143, v15                               // 00000000F72C: 021E1F8F
	v_add_f32_e32 v39, v15, v39                                // 00000000F730: 024E4F0F
	s_waitcnt lgkmcnt(0)                                       // 00000000F734: BF8CC07F
	v_max3_f32 v48, |v64|, |v65|, v48                          // 00000000F738: D1D30330 04C28340
	v_max3_f32 v48, |v66|, |v67|, v48                          // 00000000F740: D1D30330 04C28742
	v_max3_f32 v48, |v68|, |v69|, v48                          // 00000000F748: D1D30330 04C28B44
	v_max3_f32 v48, |v70|, |v71|, v48                          // 00000000F750: D1D30330 04C28F46
	v_max3_f32 v48, |v72|, |v73|, v48                          // 00000000F758: D1D30330 04C29348
	v_max3_f32 v48, |v74|, |v75|, v48                          // 00000000F760: D1D30330 04C2974A
	v_max3_f32 v48, |v76|, |v77|, v48                          // 00000000F768: D1D30330 04C29B4C
	v_max3_f32 v48, |v78|, |v79|, v48                          // 00000000F770: D1D30330 04C29F4E
	s_nop 2                                                    // 00000000F778: BF800002
	v_rcp_f32_e32 v48, v48                                     // 00000000F77C: 7E604530
	s_nop 1                                                    // 00000000F780: BF800001
	v_mul_f32_e32 v48, 0x43700000, v48                         // 00000000F784: 0A6060FF 43700000
	v_mul_f32_e32 v128, v48, v240                              // 00000000F78C: 0B01E130
	v_mul_f32_e32 v129, v48, v241                              // 00000000F790: 0B03E330
	v_mul_f32_e32 v130, v48, v242                              // 00000000F794: 0B05E530
	v_mul_f32_e32 v131, v48, v243                              // 00000000F798: 0B07E730
	v_mul_f32_e32 v132, v48, v244                              // 00000000F79C: 0B09E930
	v_mul_f32_e32 v133, v48, v245                              // 00000000F7A0: 0B0BEB30
	v_mul_f32_e32 v134, v48, v246                              // 00000000F7A4: 0B0DED30
	v_mul_f32_e32 v135, v48, v247                              // 00000000F7A8: 0B0FEF30
	v_mul_f32_e32 v136, v48, v248                              // 00000000F7AC: 0B11F130
	v_mul_f32_e32 v137, v48, v249                              // 00000000F7B0: 0B13F330
	v_mul_f32_e32 v138, v48, v250                              // 00000000F7B4: 0B15F530
	v_mul_f32_e32 v139, v48, v251                              // 00000000F7B8: 0B17F730
	v_mul_f32_e32 v140, v48, v252                              // 00000000F7BC: 0B19F930
	v_mul_f32_e32 v141, v48, v253                              // 00000000F7C0: 0B1BFB30
	v_mul_f32_e32 v142, v48, v254                              // 00000000F7C4: 0B1DFD30
	v_mul_f32_e32 v143, v48, v255                              // 00000000F7C8: 0B1FFF30
	v_cvt_pk_fp8_f32 v128, v128, v129                          // 00000000F7CC: D2A20080 00030380
	v_cvt_pk_fp8_f32 v128, v130, v131 op_sel:[0,0,1]           // 00000000F7D4: D2A24080 00030782
	v_cvt_pk_fp8_f32 v129, v132, v133                          // 00000000F7DC: D2A20081 00030B84
	v_cvt_pk_fp8_f32 v129, v134, v135 op_sel:[0,0,1]           // 00000000F7E4: D2A24081 00030F86
	v_cvt_pk_fp8_f32 v130, v136, v137                          // 00000000F7EC: D2A20082 00031388
	v_cvt_pk_fp8_f32 v130, v138, v139 op_sel:[0,0,1]           // 00000000F7F4: D2A24082 0003178A
	v_cvt_pk_fp8_f32 v131, v140, v141                          // 00000000F7FC: D2A20083 00031B8C
	v_cvt_pk_fp8_f32 v131, v142, v143 op_sel:[0,0,1]           // 00000000F804: D2A24083 00031F8E
	ds_write_b32 v10, v128 offset:29184                        // 00000000F80C: D81A7200 0000800A
	ds_write_b32 v10, v129 offset:30208                        // 00000000F814: D81A7600 0000810A
	ds_write_b32 v10, v130 offset:31232                        // 00000000F81C: D81A7A00 0000820A
	ds_write_b32 v10, v131 offset:32256                        // 00000000F824: D81A7E00 0000830A
	v_add_f32_e32 v216, v216, v184                             // 00000000F82C: 03B171D8
	v_add_f32_e32 v217, v217, v185                             // 00000000F830: 03B373D9
	v_add_f32_e32 v218, v218, v186                             // 00000000F834: 03B575DA
	v_add_f32_e32 v219, v219, v187                             // 00000000F838: 03B777DB
	v_add_f32_e32 v220, v220, v188                             // 00000000F83C: 03B979DC
	v_add_f32_e32 v221, v221, v189                             // 00000000F840: 03BB7BDD
	v_add_f32_e32 v222, v222, v190                             // 00000000F844: 03BD7DDE
	v_add_f32_e32 v223, v223, v191                             // 00000000F848: 03BF7FDF
	v_rcp_f32_e32 v45, v48                                     // 00000000F84C: 7E5A4530
	s_waitcnt lgkmcnt(0)                                       // 00000000F850: BF8CC07F
	s_barrier                                                  // 00000000F854: BF8A0000
	ds_read_b64 v[128:129], v9 offset:29184                    // 00000000F858: D8EC7200 80000009
	ds_read_b64 v[130:131], v9 offset:29312                    // 00000000F860: D8EC7280 82000009
	ds_read_b64 v[132:133], v9 offset:30208                    // 00000000F868: D8EC7600 84000009
	ds_read_b64 v[134:135], v9 offset:30336                    // 00000000F870: D8EC7680 86000009
	ds_read_b64 v[136:137], v9 offset:31232                    // 00000000F878: D8EC7A00 88000009
	ds_read_b64 v[138:139], v9 offset:31360                    // 00000000F880: D8EC7A80 8A000009
	ds_read_b64 v[140:141], v9 offset:32256                    // 00000000F888: D8EC7E00 8C000009
	ds_read_b64 v[142:143], v9 offset:32384                    // 00000000F890: D8EC7E80 8E000009
	s_waitcnt vmcnt(0)                                         // 00000000F898: BF8C0F70
	s_barrier                                                  // 00000000F89C: BF8A0000
	v_mfma_f32_16x16x32_fp8_fp8 v[176:179], a[96:97], v[112:113], 0// 00000000F8A0: D3F300B0 0A02E160
	v_mfma_f32_16x16x32_fp8_fp8 v[176:179], a[98:99], v[114:115], v[176:179]// 00000000F8A8: D3F300B0 0EC2E562
	v_mfma_f32_16x16x32_fp8_fp8 v[176:179], a[100:101], v[116:117], v[176:179]// 00000000F8B0: D3F300B0 0EC2E964
	v_mfma_f32_16x16x32_fp8_fp8 v[176:179], a[102:103], v[118:119], v[176:179]// 00000000F8B8: D3F300B0 0EC2ED66
	v_mfma_f32_16x16x32_fp8_fp8 v[176:179], a[104:105], v[120:121], v[176:179]// 00000000F8C0: D3F300B0 0EC2F168
	v_mfma_f32_16x16x32_fp8_fp8 v[176:179], a[106:107], v[122:123], v[176:179]// 00000000F8C8: D3F300B0 0EC2F56A
	v_mfma_f32_16x16x32_fp8_fp8 v[176:179], a[108:109], v[124:125], v[176:179]// 00000000F8D0: D3F300B0 0EC2F96C
	v_mfma_f32_16x16x32_fp8_fp8 v[176:179], a[110:111], v[126:127], v[176:179]// 00000000F8D8: D3F300B0 0EC2FD6E
	v_mfma_f32_16x16x32_fp8_fp8 v[180:183], a[112:113], v[112:113], 0// 00000000F8E0: D3F300B4 0A02E170
	v_mfma_f32_16x16x32_fp8_fp8 v[180:183], a[114:115], v[114:115], v[180:183]// 00000000F8E8: D3F300B4 0ED2E572
	v_mfma_f32_16x16x32_fp8_fp8 v[180:183], a[116:117], v[116:117], v[180:183]// 00000000F8F0: D3F300B4 0ED2E974
	v_mfma_f32_16x16x32_fp8_fp8 v[180:183], a[118:119], v[118:119], v[180:183]// 00000000F8F8: D3F300B4 0ED2ED76
	v_mfma_f32_16x16x32_fp8_fp8 v[180:183], a[120:121], v[120:121], v[180:183]// 00000000F900: D3F300B4 0ED2F178
	v_mfma_f32_16x16x32_fp8_fp8 v[180:183], a[122:123], v[122:123], v[180:183]// 00000000F908: D3F300B4 0ED2F57A
	v_mfma_f32_16x16x32_fp8_fp8 v[180:183], a[124:125], v[124:125], v[180:183]// 00000000F910: D3F300B4 0ED2F97C
	v_mfma_f32_16x16x32_fp8_fp8 v[180:183], a[126:127], v[126:127], v[180:183]// 00000000F918: D3F300B4 0ED2FD7E
	v_mfma_f32_16x16x32_fp8_fp8 v[184:187], a[96:97], v[128:129], 0// 00000000F920: D3F300B8 0A030160
	v_mfma_f32_16x16x32_fp8_fp8 v[184:187], a[98:99], v[130:131], v[184:187]// 00000000F928: D3F300B8 0EE30562
	v_mfma_f32_16x16x32_fp8_fp8 v[184:187], a[100:101], v[132:133], v[184:187]// 00000000F930: D3F300B8 0EE30964
	v_mfma_f32_16x16x32_fp8_fp8 v[184:187], a[102:103], v[134:135], v[184:187]// 00000000F938: D3F300B8 0EE30D66
	v_mfma_f32_16x16x32_fp8_fp8 v[184:187], a[104:105], v[136:137], v[184:187]// 00000000F940: D3F300B8 0EE31168
	v_mfma_f32_16x16x32_fp8_fp8 v[184:187], a[106:107], v[138:139], v[184:187]// 00000000F948: D3F300B8 0EE3156A
	v_mfma_f32_16x16x32_fp8_fp8 v[184:187], a[108:109], v[140:141], v[184:187]// 00000000F950: D3F300B8 0EE3196C
	v_mfma_f32_16x16x32_fp8_fp8 v[184:187], a[110:111], v[142:143], v[184:187]// 00000000F958: D3F300B8 0EE31D6E
	v_mfma_f32_16x16x32_fp8_fp8 v[188:191], a[112:113], v[128:129], 0// 00000000F960: D3F300BC 0A030170
	v_mfma_f32_16x16x32_fp8_fp8 v[188:191], a[114:115], v[130:131], v[188:191]// 00000000F968: D3F300BC 0EF30572
	v_mfma_f32_16x16x32_fp8_fp8 v[188:191], a[116:117], v[132:133], v[188:191]// 00000000F970: D3F300BC 0EF30974
	v_mfma_f32_16x16x32_fp8_fp8 v[188:191], a[118:119], v[134:135], v[188:191]// 00000000F978: D3F300BC 0EF30D76
	v_mfma_f32_16x16x32_fp8_fp8 v[188:191], a[120:121], v[136:137], v[188:191]// 00000000F980: D3F300BC 0EF31178
	v_mfma_f32_16x16x32_fp8_fp8 v[188:191], a[122:123], v[138:139], v[188:191]// 00000000F988: D3F300BC 0EF3157A
	v_mfma_f32_16x16x32_fp8_fp8 v[188:191], a[124:125], v[140:141], v[188:191]// 00000000F990: D3F300BC 0EF3197C
	v_mfma_f32_16x16x32_fp8_fp8 v[188:191], a[126:127], v[142:143], v[188:191]// 00000000F998: D3F300BC 0EF31D7E
	s_nop 4                                                    // 00000000F9A0: BF800004
	s_branch label_35EA                                        // 00000000F9A4: BF820000

000000000000f9a8 <label_35EA>:
	v_mul_f32_e32 v208, v49, v208                              // 00000000F9A8: 0BA1A131
	v_mul_f32_e32 v209, v49, v209                              // 00000000F9AC: 0BA3A331
	v_mul_f32_e32 v210, v49, v210                              // 00000000F9B0: 0BA5A531
	v_mul_f32_e32 v211, v49, v211                              // 00000000F9B4: 0BA7A731
	v_mul_f32_e32 v212, v49, v212                              // 00000000F9B8: 0BA9A931
	v_mul_f32_e32 v213, v49, v213                              // 00000000F9BC: 0BABAB31
	v_mul_f32_e32 v214, v49, v214                              // 00000000F9C0: 0BADAD31
	v_mul_f32_e32 v215, v49, v215                              // 00000000F9C4: 0BAFAF31
	v_mul_f32_e32 v176, v44, v176                              // 00000000F9C8: 0B61612C
	v_mul_f32_e32 v177, v44, v177                              // 00000000F9CC: 0B63632C
	v_mul_f32_e32 v178, v44, v178                              // 00000000F9D0: 0B65652C
	v_mul_f32_e32 v179, v44, v179                              // 00000000F9D4: 0B67672C
	v_mul_f32_e32 v180, v44, v180                              // 00000000F9D8: 0B69692C
	v_mul_f32_e32 v181, v44, v181                              // 00000000F9DC: 0B6B6B2C
	v_mul_f32_e32 v182, v44, v182                              // 00000000F9E0: 0B6D6D2C
	v_mul_f32_e32 v183, v44, v183                              // 00000000F9E4: 0B6F6F2C
	v_add_f32_e32 v208, v208, v176                             // 00000000F9E8: 03A161D0
	v_add_f32_e32 v209, v209, v177                             // 00000000F9EC: 03A363D1
	v_add_f32_e32 v210, v210, v178                             // 00000000F9F0: 03A565D2
	v_add_f32_e32 v211, v211, v179                             // 00000000F9F4: 03A767D3
	v_add_f32_e32 v212, v212, v180                             // 00000000F9F8: 03A969D4
	v_add_f32_e32 v213, v213, v181                             // 00000000F9FC: 03AB6BD5
	v_add_f32_e32 v214, v214, v182                             // 00000000FA00: 03AD6DD6
	v_add_f32_e32 v215, v215, v183                             // 00000000FA04: 03AF6FD7
	ds_write_b32 v8, v38 offset:16896                          // 00000000FA08: D81A4200 00002608
	s_waitcnt lgkmcnt(0)                                       // 00000000FA10: BF8CC07F
	s_barrier                                                  // 00000000FA14: BF8A0000
	ds_read_b32 v64, v7 offset:16896                           // 00000000FA18: D86C4200 40000007
	ds_read_b32 v65, v7 offset:16960                           // 00000000FA20: D86C4240 41000007
	ds_read_b32 v66, v7 offset:17024                           // 00000000FA28: D86C4280 42000007
	ds_read_b32 v67, v7 offset:17088                           // 00000000FA30: D86C42C0 43000007
	ds_read_b32 v68, v7 offset:17152                           // 00000000FA38: D86C4300 44000007
	ds_read_b32 v69, v7 offset:17216                           // 00000000FA40: D86C4340 45000007
	ds_read_b32 v70, v7 offset:17280                           // 00000000FA48: D86C4380 46000007
	ds_read_b32 v71, v7 offset:17344                           // 00000000FA50: D86C43C0 47000007
	ds_read_b32 v72, v7 offset:17408                           // 00000000FA58: D86C4400 48000007
	ds_read_b32 v73, v7 offset:17472                           // 00000000FA60: D86C4440 49000007
	ds_read_b32 v74, v7 offset:17536                           // 00000000FA68: D86C4480 4A000007
	ds_read_b32 v75, v7 offset:17600                           // 00000000FA70: D86C44C0 4B000007
	ds_read_b32 v76, v7 offset:17664                           // 00000000FA78: D86C4500 4C000007
	ds_read_b32 v77, v7 offset:17728                           // 00000000FA80: D86C4540 4D000007
	ds_read_b32 v78, v7 offset:17792                           // 00000000FA88: D86C4580 4E000007
	ds_read_b32 v79, v7 offset:17856                           // 00000000FA90: D86C45C0 4F000007
	s_waitcnt lgkmcnt(0)                                       // 00000000FA98: BF8CC07F
	v_mov_b32_e32 v38, 0                                       // 00000000FA9C: 7E4C0280
	v_add_f32_e32 v38, v64, v38                                // 00000000FAA0: 024C4D40
	v_add_f32_e32 v38, v65, v38                                // 00000000FAA4: 024C4D41
	v_add_f32_e32 v38, v66, v38                                // 00000000FAA8: 024C4D42
	v_add_f32_e32 v38, v67, v38                                // 00000000FAAC: 024C4D43
	v_add_f32_e32 v38, v68, v38                                // 00000000FAB0: 024C4D44
	v_add_f32_e32 v38, v69, v38                                // 00000000FAB4: 024C4D45
	v_add_f32_e32 v38, v70, v38                                // 00000000FAB8: 024C4D46
	v_add_f32_e32 v38, v71, v38                                // 00000000FABC: 024C4D47
	v_add_f32_e32 v38, v72, v38                                // 00000000FAC0: 024C4D48
	v_add_f32_e32 v38, v73, v38                                // 00000000FAC4: 024C4D49
	v_add_f32_e32 v38, v74, v38                                // 00000000FAC8: 024C4D4A
	v_add_f32_e32 v38, v75, v38                                // 00000000FACC: 024C4D4B
	v_add_f32_e32 v38, v76, v38                                // 00000000FAD0: 024C4D4C
	v_add_f32_e32 v38, v77, v38                                // 00000000FAD4: 024C4D4D
	v_add_f32_e32 v38, v78, v38                                // 00000000FAD8: 024C4D4E
	v_add_f32_e32 v38, v79, v38                                // 00000000FADC: 024C4D4F
	s_nop 1                                                    // 00000000FAE0: BF800001
	v_rcp_f32_e32 v38, v38                                     // 00000000FAE4: 7E4C4526
	s_nop 1                                                    // 00000000FAE8: BF800001
	v_mul_f32_e32 v208, v38, v208                              // 00000000FAEC: 0BA1A126
	v_mul_f32_e32 v209, v38, v209                              // 00000000FAF0: 0BA3A326
	v_mul_f32_e32 v210, v38, v210                              // 00000000FAF4: 0BA5A526
	v_mul_f32_e32 v211, v38, v211                              // 00000000FAF8: 0BA7A726
	v_mul_f32_e32 v212, v38, v212                              // 00000000FAFC: 0BA9A926
	v_mul_f32_e32 v213, v38, v213                              // 00000000FB00: 0BABAB26
	v_mul_f32_e32 v214, v38, v214                              // 00000000FB04: 0BADAD26
	v_mul_f32_e32 v215, v38, v215                              // 00000000FB08: 0BAFAF26
	v_mov_b32_e32 v19, 0xffff0000                              // 00000000FB0C: 7E2602FF FFFF0000
	v_mov_b32_e32 v20, 0x7fff0000                              // 00000000FB14: 7E2802FF 7FFF0000
	v_mov_b32_e32 v21, 0x7fff                                  // 00000000FB1C: 7E2A02FF 00007FFF
	v_cvt_pkrtz_f16_f32 v64, v208, v209                        // 00000000FB24: D2960040 0003A3D0
	v_mov_b32_e32 v208, v64                                    // 00000000FB2C: 7FA00340
	v_cvt_pkrtz_f16_f32 v64, v210, v211                        // 00000000FB30: D2960040 0003A7D2
	v_mov_b32_e32 v209, v64                                    // 00000000FB38: 7FA20340
	v_cvt_pkrtz_f16_f32 v64, v212, v213                        // 00000000FB3C: D2960040 0003ABD4
	v_mov_b32_e32 v210, v64                                    // 00000000FB44: 7FA40340
	v_cvt_pkrtz_f16_f32 v64, v214, v215                        // 00000000FB48: D2960040 0003AFD6
	v_mov_b32_e32 v211, v64                                    // 00000000FB50: 7FA60340
	s_nop 1                                                    // 00000000FB54: BF800001
	v_lshrrev_b32_e32 v64, 4, v0                               // 00000000FB58: 20800084
	v_mul_i32_i24_e32 v68, 34, v64                             // 00000000FB5C: 0C8880A2
	v_and_b32_e32 v64, 15, v0                                  // 00000000FB60: 2680008F
	v_mul_i32_i24_e32 v65, 2, v64                              // 00000000FB64: 0C828082
	v_add_u32_e32 v68, v65, v68                                // 00000000FB68: 68888941
	s_mul_i32 s60, s7, 0x88                                    // 00000000FB6C: 923CFF07 00000088
	v_add_u32_e32 v68, s60, v68                                // 00000000FB74: 6888883C
	v_lshlrev_b32_e32 v68, 2, v68                              // 00000000FB78: 24888882
	ds_write_b64 v68, v[208:209] offset:41472                  // 00000000FB7C: D89AA200 0000D044
	ds_write_b64 v68, v[210:211] offset:43648                  // 00000000FB84: D89AAA80 0000D244
	v_lshrrev_b32_e32 v64, 1, v0                               // 00000000FB8C: 20800081
	v_mul_i32_i24_e32 v68, 34, v64                             // 00000000FB90: 0C8880A2
	v_and_b32_e32 v65, 1, v0                                   // 00000000FB94: 26820081
	v_add_u32_e32 v68, v65, v68                                // 00000000FB98: 68888941
	s_mul_i32 s60, s7, 2                                       // 00000000FB9C: 923C8207
	v_add_u32_e32 v68, s60, v68                                // 00000000FBA0: 6888883C
	v_lshlrev_b32_e32 v68, 2, v68                              // 00000000FBA4: 24888882
	s_waitcnt lgkmcnt(0)                                       // 00000000FBA8: BF8CC07F
	s_barrier                                                  // 00000000FBAC: BF8A0000
	ds_read_b32 v208, v68 offset:41472                         // 00000000FBB0: D86CA200 D0000044
	ds_read_b32 v209, v68 offset:41504                         // 00000000FBB8: D86CA220 D1000044
	ds_read_b32 v210, v68 offset:41536                         // 00000000FBC0: D86CA240 D2000044
	ds_read_b32 v211, v68 offset:41568                         // 00000000FBC8: D86CA260 D3000044
	s_mul_i32 s60, s7, 0x100                                   // 00000000FBD0: 923CFF07 00000100
	v_lshlrev_b32_e32 v64, 2, v0                               // 00000000FBD8: 24800082
	v_add_u32_e64 v64, v64, s60                                // 00000000FBDC: D1340040 00007940
	s_waitcnt lgkmcnt(0)                                       // 00000000FBE4: BF8CC07F
	buffer_store_dword v208, v64, s[8:11], 0 offen             // 00000000FBE8: E0701000 8002D040
	buffer_store_dword v209, v64, s[8:11], 0 offen offset:1024 // 00000000FBF0: E0701400 8002D140
	buffer_store_dword v210, v64, s[8:11], 0 offen offset:2048 // 00000000FBF8: E0701800 8002D240
	buffer_store_dword v211, v64, s[8:11], 0 offen offset:3072 // 00000000FC00: E0701C00 8002D340
	s_add_u32 s8, s75, s8                                      // 00000000FC08: 8008084B
	s_addc_u32 s9, 0, s9                                       // 00000000FC0C: 82090980
	v_mul_f32_e32 v216, v50, v216                              // 00000000FC10: 0BB1B132
	v_mul_f32_e32 v217, v50, v217                              // 00000000FC14: 0BB3B332
	v_mul_f32_e32 v218, v50, v218                              // 00000000FC18: 0BB5B532
	v_mul_f32_e32 v219, v50, v219                              // 00000000FC1C: 0BB7B732
	v_mul_f32_e32 v220, v50, v220                              // 00000000FC20: 0BB9B932
	v_mul_f32_e32 v221, v50, v221                              // 00000000FC24: 0BBBBB32
	v_mul_f32_e32 v222, v50, v222                              // 00000000FC28: 0BBDBD32
	v_mul_f32_e32 v223, v50, v223                              // 00000000FC2C: 0BBFBF32
	v_mul_f32_e32 v184, v45, v184                              // 00000000FC30: 0B71712D
	v_mul_f32_e32 v185, v45, v185                              // 00000000FC34: 0B73732D
	v_mul_f32_e32 v186, v45, v186                              // 00000000FC38: 0B75752D
	v_mul_f32_e32 v187, v45, v187                              // 00000000FC3C: 0B77772D
	v_mul_f32_e32 v188, v45, v188                              // 00000000FC40: 0B79792D
	v_mul_f32_e32 v189, v45, v189                              // 00000000FC44: 0B7B7B2D
	v_mul_f32_e32 v190, v45, v190                              // 00000000FC48: 0B7D7D2D
	v_mul_f32_e32 v191, v45, v191                              // 00000000FC4C: 0B7F7F2D
	v_add_f32_e32 v216, v216, v184                             // 00000000FC50: 03B171D8
	v_add_f32_e32 v217, v217, v185                             // 00000000FC54: 03B373D9
	v_add_f32_e32 v218, v218, v186                             // 00000000FC58: 03B575DA
	v_add_f32_e32 v219, v219, v187                             // 00000000FC5C: 03B777DB
	v_add_f32_e32 v220, v220, v188                             // 00000000FC60: 03B979DC
	v_add_f32_e32 v221, v221, v189                             // 00000000FC64: 03BB7BDD
	v_add_f32_e32 v222, v222, v190                             // 00000000FC68: 03BD7DDE
	v_add_f32_e32 v223, v223, v191                             // 00000000FC6C: 03BF7FDF
	ds_write_b32 v8, v39 offset:16896                          // 00000000FC70: D81A4200 00002708
	s_waitcnt lgkmcnt(0)                                       // 00000000FC78: BF8CC07F
	s_barrier                                                  // 00000000FC7C: BF8A0000
	ds_read_b32 v64, v7 offset:16896                           // 00000000FC80: D86C4200 40000007
	ds_read_b32 v65, v7 offset:16960                           // 00000000FC88: D86C4240 41000007
	ds_read_b32 v66, v7 offset:17024                           // 00000000FC90: D86C4280 42000007
	ds_read_b32 v67, v7 offset:17088                           // 00000000FC98: D86C42C0 43000007
	ds_read_b32 v68, v7 offset:17152                           // 00000000FCA0: D86C4300 44000007
	ds_read_b32 v69, v7 offset:17216                           // 00000000FCA8: D86C4340 45000007
	ds_read_b32 v70, v7 offset:17280                           // 00000000FCB0: D86C4380 46000007
	ds_read_b32 v71, v7 offset:17344                           // 00000000FCB8: D86C43C0 47000007
	ds_read_b32 v72, v7 offset:17408                           // 00000000FCC0: D86C4400 48000007
	ds_read_b32 v73, v7 offset:17472                           // 00000000FCC8: D86C4440 49000007
	ds_read_b32 v74, v7 offset:17536                           // 00000000FCD0: D86C4480 4A000007
	ds_read_b32 v75, v7 offset:17600                           // 00000000FCD8: D86C44C0 4B000007
	ds_read_b32 v76, v7 offset:17664                           // 00000000FCE0: D86C4500 4C000007
	ds_read_b32 v77, v7 offset:17728                           // 00000000FCE8: D86C4540 4D000007
	ds_read_b32 v78, v7 offset:17792                           // 00000000FCF0: D86C4580 4E000007
	ds_read_b32 v79, v7 offset:17856                           // 00000000FCF8: D86C45C0 4F000007
	s_waitcnt lgkmcnt(0)                                       // 00000000FD00: BF8CC07F
	v_mov_b32_e32 v39, 0                                       // 00000000FD04: 7E4E0280
	v_add_f32_e32 v39, v64, v39                                // 00000000FD08: 024E4F40
	v_add_f32_e32 v39, v65, v39                                // 00000000FD0C: 024E4F41
	v_add_f32_e32 v39, v66, v39                                // 00000000FD10: 024E4F42
	v_add_f32_e32 v39, v67, v39                                // 00000000FD14: 024E4F43
	v_add_f32_e32 v39, v68, v39                                // 00000000FD18: 024E4F44
	v_add_f32_e32 v39, v69, v39                                // 00000000FD1C: 024E4F45
	v_add_f32_e32 v39, v70, v39                                // 00000000FD20: 024E4F46
	v_add_f32_e32 v39, v71, v39                                // 00000000FD24: 024E4F47
	v_add_f32_e32 v39, v72, v39                                // 00000000FD28: 024E4F48
	v_add_f32_e32 v39, v73, v39                                // 00000000FD2C: 024E4F49
	v_add_f32_e32 v39, v74, v39                                // 00000000FD30: 024E4F4A
	v_add_f32_e32 v39, v75, v39                                // 00000000FD34: 024E4F4B
	v_add_f32_e32 v39, v76, v39                                // 00000000FD38: 024E4F4C
	v_add_f32_e32 v39, v77, v39                                // 00000000FD3C: 024E4F4D
	v_add_f32_e32 v39, v78, v39                                // 00000000FD40: 024E4F4E
	v_add_f32_e32 v39, v79, v39                                // 00000000FD44: 024E4F4F
	s_nop 1                                                    // 00000000FD48: BF800001
	v_rcp_f32_e32 v39, v39                                     // 00000000FD4C: 7E4E4527
	s_nop 1                                                    // 00000000FD50: BF800001
	v_mul_f32_e32 v216, v39, v216                              // 00000000FD54: 0BB1B127
	v_mul_f32_e32 v217, v39, v217                              // 00000000FD58: 0BB3B327
	v_mul_f32_e32 v218, v39, v218                              // 00000000FD5C: 0BB5B527
	v_mul_f32_e32 v219, v39, v219                              // 00000000FD60: 0BB7B727
	v_mul_f32_e32 v220, v39, v220                              // 00000000FD64: 0BB9B927
	v_mul_f32_e32 v221, v39, v221                              // 00000000FD68: 0BBBBB27
	v_mul_f32_e32 v222, v39, v222                              // 00000000FD6C: 0BBDBD27
	v_mul_f32_e32 v223, v39, v223                              // 00000000FD70: 0BBFBF27
	v_mov_b32_e32 v19, 0xffff0000                              // 00000000FD74: 7E2602FF FFFF0000
	v_mov_b32_e32 v20, 0x7fff0000                              // 00000000FD7C: 7E2802FF 7FFF0000
	v_mov_b32_e32 v21, 0x7fff                                  // 00000000FD84: 7E2A02FF 00007FFF
	v_cvt_pkrtz_f16_f32 v64, v216, v217                        // 00000000FD8C: D2960040 0003B3D8
	v_mov_b32_e32 v216, v64                                    // 00000000FD94: 7FB00340
	v_cvt_pkrtz_f16_f32 v64, v218, v219                        // 00000000FD98: D2960040 0003B7DA
	v_mov_b32_e32 v217, v64                                    // 00000000FDA0: 7FB20340
	v_cvt_pkrtz_f16_f32 v64, v220, v221                        // 00000000FDA4: D2960040 0003BBDC
	v_mov_b32_e32 v218, v64                                    // 00000000FDAC: 7FB40340
	v_cvt_pkrtz_f16_f32 v64, v222, v223                        // 00000000FDB0: D2960040 0003BFDE
	v_mov_b32_e32 v219, v64                                    // 00000000FDB8: 7FB60340
	s_nop 1                                                    // 00000000FDBC: BF800001
	v_lshrrev_b32_e32 v64, 4, v0                               // 00000000FDC0: 20800084
	v_mul_i32_i24_e32 v68, 34, v64                             // 00000000FDC4: 0C8880A2
	v_and_b32_e32 v64, 15, v0                                  // 00000000FDC8: 2680008F
	v_mul_i32_i24_e32 v65, 2, v64                              // 00000000FDCC: 0C828082
	v_add_u32_e32 v68, v65, v68                                // 00000000FDD0: 68888941
	s_mul_i32 s60, s7, 0x88                                    // 00000000FDD4: 923CFF07 00000088
	v_add_u32_e32 v68, s60, v68                                // 00000000FDDC: 6888883C
	v_lshlrev_b32_e32 v68, 2, v68                              // 00000000FDE0: 24888882
	ds_write_b64 v68, v[216:217] offset:41472                  // 00000000FDE4: D89AA200 0000D844
	ds_write_b64 v68, v[218:219] offset:43648                  // 00000000FDEC: D89AAA80 0000DA44
	v_lshrrev_b32_e32 v64, 1, v0                               // 00000000FDF4: 20800081
	v_mul_i32_i24_e32 v68, 34, v64                             // 00000000FDF8: 0C8880A2
	v_and_b32_e32 v65, 1, v0                                   // 00000000FDFC: 26820081
	v_add_u32_e32 v68, v65, v68                                // 00000000FE00: 68888941
	s_mul_i32 s60, s7, 2                                       // 00000000FE04: 923C8207
	v_add_u32_e32 v68, s60, v68                                // 00000000FE08: 6888883C
	v_lshlrev_b32_e32 v68, 2, v68                              // 00000000FE0C: 24888882
	s_waitcnt lgkmcnt(0)                                       // 00000000FE10: BF8CC07F
	s_barrier                                                  // 00000000FE14: BF8A0000
	ds_read_b32 v216, v68 offset:41472                         // 00000000FE18: D86CA200 D8000044
	ds_read_b32 v217, v68 offset:41504                         // 00000000FE20: D86CA220 D9000044
	ds_read_b32 v218, v68 offset:41536                         // 00000000FE28: D86CA240 DA000044
	ds_read_b32 v219, v68 offset:41568                         // 00000000FE30: D86CA260 DB000044
	s_mul_i32 s60, s7, 0x100                                   // 00000000FE38: 923CFF07 00000100
	v_lshlrev_b32_e32 v64, 2, v0                               // 00000000FE40: 24800082
	v_add_u32_e64 v64, v64, s60                                // 00000000FE44: D1340040 00007940
	s_waitcnt lgkmcnt(0)                                       // 00000000FE4C: BF8CC07F
	buffer_store_dword v216, v64, s[8:11], 0 offen             // 00000000FE50: E0701000 8002D840
	buffer_store_dword v217, v64, s[8:11], 0 offen offset:1024 // 00000000FE58: E0701400 8002D940
	buffer_store_dword v218, v64, s[8:11], 0 offen offset:2048 // 00000000FE60: E0701800 8002DA40
	buffer_store_dword v219, v64, s[8:11], 0 offen offset:3072 // 00000000FE68: E0701C00 8002DB40
	s_add_u32 s8, s75, s8                                      // 00000000FE70: 8008084B
	s_addc_u32 s9, 0, s9                                       // 00000000FE74: 82090980

000000000000fe78 <label_371E>:
	s_branch label_6B38                                        // 00000000FE78: BF823419

000000000000fe7c <label_371F>:
	s_mul_i32 s60, s3, s65                                     // 00000000FE7C: 923C4103
	s_mul_i32 s60, s60, 4                                      // 00000000FE80: 923C843C
	s_add_u32 s24, s60, s24                                    // 00000000FE84: 8018183C
	s_addc_u32 s25, 0, s25                                     // 00000000FE88: 82191980
	s_mov_b32 s56, 64                                          // 00000000FE8C: BEB800C0
	s_add_u32 s73, s72, 15                                     // 00000000FE90: 80498F48
	s_lshr_b32 s73, s73, 4                                     // 00000000FE94: 8F498449
	s_mul_i32 s60, s73, 4                                      // 00000000FE98: 923C8449
	s_mov_b32 s26, s60                                         // 00000000FE9C: BE9A003C
	s_sub_u32 s89, s72, s86                                    // 00000000FEA0: 80D95648
	s_mov_b32 s90, 0xff                                        // 00000000FEA4: BEDA00FF 000000FF
	s_mov_b32 s91, 0x100                                       // 00000000FEAC: BEDB00FF 00000100
	v_and_b32_e32 v65, 3, v0                                   // 00000000FEB4: 26820083
	v_cmp_eq_u32_e64 s[60:61], 0, v65                          // 00000000FEB8: D0CA003C 00028280
	v_and_b32_e32 v64, 12, v0                                  // 00000000FEC0: 2680008C
	v_add_u32_e32 v1, s7, v64                                  // 00000000FEC4: 68028007
	v_cndmask_b32_e64 v1, 0, v1, s[60:61]                      // 00000000FEC8: D1000001 00F20280
	v_and_b32_e32 v65, 3, v0                                   // 00000000FED0: 26820083
	v_cmp_eq_u32_e64 s[60:61], 1, v65                          // 00000000FED4: D0CA003C 00028281
	v_lshrrev_b32_e32 v64, 4, v0                               // 00000000FEDC: 20800084
	v_and_b32_e32 v65, 12, v0                                  // 00000000FEE0: 2682008C
	v_add_u32_e32 v64, v65, v64                                // 00000000FEE4: 68808141
	v_cndmask_b32_e64 v64, 0, v64, s[60:61]                    // 00000000FEE8: D1000040 00F28080
	v_add_u32_e32 v1, v1, v64                                  // 00000000FEF0: 68028101
	v_lshlrev_b32_e32 v1, 2, v1                                // 00000000FEF4: 24020282
	buffer_load_dword v16, v1, s[24:27], 0 offen               // 00000000FEF8: E0501000 80061001
	v_add_u32_e32 v1, s56, v1                                  // 00000000FF00: 68020238
	buffer_load_dword v17, v1, s[24:27], 0 offen               // 00000000FF04: E0501000 80061101
	s_cmp_le_u32 s73, 32                                       // 00000000FF0C: BF0BA049
	s_cselect_b32 s56, 0, s56                                  // 00000000FF10: 85383880
	s_mul_i32 s60, s2, s67                                     // 00000000FF14: 923C4302
	s_mul_i32 s61, s84, s74                                    // 00000000FF18: 923D4A54
	s_add_u32 s60, s60, s61                                    // 00000000FF1C: 803C3D3C
	s_add_u32 s12, s60, s12                                    // 00000000FF20: 800C0C3C
	s_addc_u32 s13, 0, s13                                     // 00000000FF24: 820D0D80
	s_mul_i32 s60, s7, 0x108                                   // 00000000FF28: 923CFF07 00000108
	s_add_u32 m0, 0, s60                                       // 00000000FF30: 807C3C80
	s_mul_i32 s60, s7, 0x100                                   // 00000000FF34: 923CFF07 00000100
	v_lshlrev_b32_e32 v64, 2, v0                               // 00000000FF3C: 24800082
	v_add_u32_e64 v64, v64, s60                                // 00000000FF40: D1340040 00007940
	v_add_u32_e32 v65, 0x400, v64                              // 00000000FF48: 688280FF 00000400
	v_add_u32_e32 v66, 0x800, v64                              // 00000000FF50: 688480FF 00000800
	v_add_u32_e32 v67, 0xc00, v64                              // 00000000FF58: 688680FF 00000C00
	buffer_load_dword v64, s[12:15], 0 offen lds               // 00000000FF60: E0511000 80030040
	s_mul_i32 s60, 4, 0x108                                    // 00000000FF68: 923CFF84 00000108
	s_add_u32 m0, m0, s60                                      // 00000000FF70: 807C3C7C
	buffer_load_dword v65, s[12:15], 0 offen lds               // 00000000FF74: E0511000 80030041
	s_mul_i32 s60, 4, 0x108                                    // 00000000FF7C: 923CFF84 00000108
	s_add_u32 m0, m0, s60                                      // 00000000FF84: 807C3C7C
	buffer_load_dword v66, s[12:15], 0 offen lds               // 00000000FF88: E0511000 80030042
	s_mul_i32 s60, 4, 0x108                                    // 00000000FF90: 923CFF84 00000108
	s_add_u32 m0, m0, s60                                      // 00000000FF98: 807C3C7C
	buffer_load_dword v67, s[12:15], 0 offen lds               // 00000000FF9C: E0511000 80030043
	s_mul_i32 s60, 4, 0x108                                    // 00000000FFA4: 923CFF84 00000108
	s_add_u32 m0, m0, s60                                      // 00000000FFAC: 807C3C7C
	s_add_u32 s12, s74, s12                                    // 00000000FFB0: 800C0C4A
	s_addc_u32 s13, 0, s13                                     // 00000000FFB4: 820D0D80
	buffer_load_dword v64, s[12:15], 0 offen lds               // 00000000FFB8: E0511000 80030040
	s_mul_i32 s60, 4, 0x108                                    // 00000000FFC0: 923CFF84 00000108
	s_add_u32 m0, m0, s60                                      // 00000000FFC8: 807C3C7C
	buffer_load_dword v65, s[12:15], 0 offen lds               // 00000000FFCC: E0511000 80030041
	s_mul_i32 s60, 4, 0x108                                    // 00000000FFD4: 923CFF84 00000108
	s_add_u32 m0, m0, s60                                      // 00000000FFDC: 807C3C7C
	buffer_load_dword v66, s[12:15], 0 offen lds               // 00000000FFE0: E0511000 80030042
	s_mul_i32 s60, 4, 0x108                                    // 00000000FFE8: 923CFF84 00000108
	s_add_u32 m0, m0, s60                                      // 00000000FFF0: 807C3C7C
	buffer_load_dword v67, s[12:15], 0 offen lds               // 00000000FFF4: E0511000 80030043
	s_mul_i32 s60, 4, 0x108                                    // 00000000FFFC: 923CFF84 00000108
	s_add_u32 m0, m0, s60                                      // 000000010004: 807C3C7C
	s_add_u32 s12, s74, s12                                    // 000000010008: 800C0C4A
	s_addc_u32 s13, 0, s13                                     // 00000001000C: 820D0D80
	buffer_load_dword v64, s[12:15], 0 offen lds               // 000000010010: E0511000 80030040
	s_mul_i32 s60, 4, 0x108                                    // 000000010018: 923CFF84 00000108
	s_add_u32 m0, m0, s60                                      // 000000010020: 807C3C7C
	buffer_load_dword v65, s[12:15], 0 offen lds               // 000000010024: E0511000 80030041
	s_mul_i32 s60, 4, 0x108                                    // 00000001002C: 923CFF84 00000108
	s_add_u32 m0, m0, s60                                      // 000000010034: 807C3C7C
	buffer_load_dword v66, s[12:15], 0 offen lds               // 000000010038: E0511000 80030042
	s_mul_i32 s60, 4, 0x108                                    // 000000010040: 923CFF84 00000108
	s_add_u32 m0, m0, s60                                      // 000000010048: 807C3C7C
	buffer_load_dword v67, s[12:15], 0 offen lds               // 00000001004C: E0511000 80030043
	s_mul_i32 s60, 4, 0x108                                    // 000000010054: 923CFF84 00000108
	s_add_u32 m0, m0, s60                                      // 00000001005C: 807C3C7C
	s_add_u32 s12, s74, s12                                    // 000000010060: 800C0C4A
	s_addc_u32 s13, 0, s13                                     // 000000010064: 820D0D80
	v_lshrrev_b32_e32 v64, 4, v0                               // 000000010068: 20800084
	v_lshlrev_b32_e32 v64, 2, v64                              // 00000001006C: 24808082
	v_and_b32_e32 v65, 3, v0                                   // 000000010070: 26820083
	v_add_u32_e32 v64, v65, v64                                // 000000010074: 68808141
	v_lshlrev_b32_e32 v59, 2, v64                              // 000000010078: 24768082
	v_mov_b32_e32 v60, v59                                     // 00000001007C: 7E78033B
	s_mul_i32 s60, s2, 64                                      // 000000010080: 923CC002
	s_add_u32 s32, s60, s32                                    // 000000010084: 8020203C
	s_addc_u32 s33, 0, s33                                     // 000000010088: 82212180
	s_add_u32 s36, s60, s36                                    // 00000001008C: 8024243C
	s_addc_u32 s37, 0, s37                                     // 000000010090: 82252580
	s_mul_i32 s60, s2, s76                                     // 000000010094: 923C4C02
	s_mul_i32 s61, s84, s75                                    // 000000010098: 923D4B54
	s_add_u32 s60, s60, s61                                    // 00000001009C: 803C3D3C
	s_add_u32 s8, s60, s8                                      // 0000000100A0: 8008083C
	s_addc_u32 s9, 0, s9                                       // 0000000100A4: 82090980
	s_mov_b32 s70, 0                                           // 0000000100A8: BEC60080
	s_and_b32 s71, s72, 0xffffff00                             // 0000000100AC: 8647FF48 FFFFFF00
	s_mov_b32 s42, 0xff00ff00                                  // 0000000100B4: BEAA00FF FF00FF00
	s_mov_b32 s43, 0xff00ff00                                  // 0000000100BC: BEAB00FF FF00FF00
	s_mov_b32 s44, 0xf0f0f0f0                                  // 0000000100C4: BEAC00FF F0F0F0F0
	s_mov_b32 s45, 0xf0f0f0f0                                  // 0000000100CC: BEAD00FF F0F0F0F0
	s_mov_b32 s78, 0xff00ff                                    // 0000000100D4: BECE00FF 00FF00FF
	s_mov_b32 s79, 0xff00ff                                    // 0000000100DC: BECF00FF 00FF00FF
	v_mul_i32_i24_e64 v63, 64, s66                             // 0000000100E4: D106003F 000084C0
	v_mov_b32_e32 v54, s68                                     // 0000000100EC: 7E6C0244
	s_mov_b32 s52, 0x7060302                                   // 0000000100F0: BEB400FF 07060302
	s_mov_b32 s53, 0x400                                       // 0000000100F8: BEB500FF 00000400
	s_mov_b32 s54, 0x40100                                     // 000000010100: BEB600FF 00040100
	s_mov_b32 s55, 0x4020100                                   // 000000010108: BEB700FF 04020100
	s_mov_b32 s6, 0x3fb8aa3b                                   // 000000010110: BE8600FF 3FB8AA3B
	v_mov_b32_e32 v11, 0xff800000                              // 000000010118: 7E1602FF FF800000
	v_mov_b32_e32 v12, 0xff800000                              // 000000010120: 7E1802FF FF800000
	v_mov_b32_e32 v49, 0                                       // 000000010128: 7E620280
	v_mov_b32_e32 v50, 0                                       // 00000001012C: 7E640280
	v_mov_b32_e32 v51, 0                                       // 000000010130: 7E660280
	v_mov_b32_e32 v38, 0                                       // 000000010134: 7E4C0280
	v_mov_b32_e32 v39, 0                                       // 000000010138: 7E4E0280
	v_mov_b32_e32 v40, 0                                       // 00000001013C: 7E500280
	v_mov_b32_e32 v44, 0                                       // 000000010140: 7E580280
	v_mov_b32_e32 v45, 0                                       // 000000010144: 7E5A0280
	v_mov_b32_e32 v46, 0                                       // 000000010148: 7E5C0280
	v_add_u32_e32 v1, s56, v1                                  // 00000001014C: 68020238
	v_and_b32_e32 v7, 15, v0                                   // 000000010150: 260E008F
	v_lshlrev_b32_e32 v7, 2, v7                                // 000000010154: 240E0E82
	v_lshlrev_b32_e32 v8, 2, v0                                // 000000010158: 24100082
	s_mul_i32 s60, 0x100, s7                                   // 00000001015C: 923C07FF 00000100
	v_add_u32_e32 v8, s60, v8                                  // 000000010164: 6810103C
	v_lshrrev_b32_e32 v64, 4, v0                               // 000000010168: 20800084
	v_lshlrev_b32_e32 v65, 6, v64                              // 00000001016C: 24828086
	v_and_b32_e32 v64, 15, v0                                  // 000000010170: 2680008F
	v_lshlrev_b32_e32 v64, 1, v64                              // 000000010174: 24808081
	v_add_u32_e32 v65, v64, v65                                // 000000010178: 68828340
	v_lshlrev_b32_e32 v9, 2, v65                               // 00000001017C: 24128282
	v_lshrrev_b32_e32 v64, 5, v0                               // 000000010180: 20800085
	v_lshlrev_b32_e32 v65, 5, v64                              // 000000010184: 24828085
	v_and_b32_e32 v64, 31, v0                                  // 000000010188: 2680009F
	v_lshrrev_b32_e32 v66, 4, v64                              // 00000001018C: 20848084
	v_add_u32_e32 v65, v66, v65                                // 000000010190: 68828342
	v_and_b32_e32 v64, 15, v0                                  // 000000010194: 2680008F
	v_lshlrev_b32_e32 v64, 1, v64                              // 000000010198: 24808081
	v_add_u32_e32 v65, v64, v65                                // 00000001019C: 68828340
	v_lshlrev_b32_e32 v64, 2, v65                              // 0000000101A0: 24808282
	s_mul_i32 s60, 0x100, s7                                   // 0000000101A4: 923C07FF 00000100
	v_add_u32_e64 v10, v64, s60                                // 0000000101AC: D134000A 00007940
	v_lshlrev_b32_e32 v5, 4, v0                                // 0000000101B4: 240A0084
	s_mul_i32 s60, s2, s69                                     // 0000000101B8: 923C4502
	s_add_u32 s16, s60, s16                                    // 0000000101BC: 8010103C
	s_addc_u32 s17, 0, s17                                     // 0000000101C0: 82111180
	v_and_b32_e32 v64, 15, v0                                  // 0000000101C4: 2680008F
	v_lshlrev_b32_e32 v6, 4, v64                               // 0000000101C8: 240C8084
	s_mul_i32 s61, s2, s69                                     // 0000000101CC: 923D4502
	s_mul_i32 s60, s7, 0x100                                   // 0000000101D0: 923CFF07 00000100
	s_add_u32 s60, s60, s61                                    // 0000000101D8: 803C3D3C
	s_add_u32 s20, s60, s20                                    // 0000000101DC: 8014143C
	s_addc_u32 s21, 0, s21                                     // 0000000101E0: 82151580
	s_waitcnt vmcnt(4)                                         // 0000000101E4: BF8C0F74
	v_mul_u32_u24_dpp v64, v16, v54 row_newbcast:0 row_mask:0xf bank_mask:0xf// 0000000101E8: 10806CFA FF015010
	v_mul_u32_u24_dpp v65, v16, v54 row_newbcast:4 row_mask:0xf bank_mask:0xf// 0000000101F0: 10826CFA FF015410
	v_mul_u32_u24_dpp v66, v16, v54 row_newbcast:8 row_mask:0xf bank_mask:0xf// 0000000101F8: 10846CFA FF015810
	v_mul_u32_u24_dpp v67, v16, v54 row_newbcast:12 row_mask:0xf bank_mask:0xf// 000000010200: 10866CFA FF015C10
	v_add_u32_e32 v22, v64, v5                                 // 000000010208: 682C0B40
	v_add_u32_e32 v23, v65, v5                                 // 00000001020C: 682E0B41
	v_add_u32_e32 v24, v66, v5                                 // 000000010210: 68300B42
	v_add_u32_e32 v25, v67, v5                                 // 000000010214: 68320B43
	v_mul_u32_u24_dpp v64, v16, v54 row_newbcast:1 row_mask:0xf bank_mask:0xf// 000000010218: 10806CFA FF015110
	v_mul_u32_u24_dpp v65, v16, v54 row_newbcast:5 row_mask:0xf bank_mask:0xf// 000000010220: 10826CFA FF015510
	v_mul_u32_u24_dpp v66, v16, v54 row_newbcast:9 row_mask:0xf bank_mask:0xf// 000000010228: 10846CFA FF015910
	v_mul_u32_u24_dpp v67, v16, v54 row_newbcast:13 row_mask:0xf bank_mask:0xf// 000000010230: 10866CFA FF015D10
	v_add_u32_e32 v30, v64, v6                                 // 000000010238: 683C0D40
	v_add_u32_e32 v31, v65, v6                                 // 00000001023C: 683E0D41
	v_add_u32_e32 v32, v66, v6                                 // 000000010240: 68400D42
	v_add_u32_e32 v33, v67, v6                                 // 000000010244: 68420D43
	v_mul_u32_u24_dpp v64, v16, v63 quad_perm:[0,0,0,0] row_mask:0xf bank_mask:0xf// 000000010248: 10807EFA FF000010
	v_add_u32_e32 v2, v64, v59                                 // 000000010250: 68047740
	v_mul_u32_u24_dpp v64, v16, v63 quad_perm:[0,0,0,0] row_mask:0xf bank_mask:0xf// 000000010254: 10807EFA FF000010
	v_add_u32_e32 v55, v64, v60                                // 00000001025C: 686E7940
	buffer_load_dword v42, v2, s[32:35], 0 offen               // 000000010260: E0501000 80082A02
	buffer_load_dwordx4 a[0:3], v22, s[16:19], 0 offen         // 000000010268: E05C1000 80840016
	buffer_load_dwordx4 a[4:7], v22, s[16:19], 0 offen offset:1024// 000000010270: E05C1400 80840416
	buffer_load_dwordx4 a[8:11], v23, s[16:19], 0 offen        // 000000010278: E05C1000 80840817
	buffer_load_dwordx4 a[12:15], v23, s[16:19], 0 offen offset:1024// 000000010280: E05C1400 80840C17
	buffer_load_dwordx4 a[16:19], v24, s[16:19], 0 offen       // 000000010288: E05C1000 80841018
	buffer_load_dwordx4 a[20:23], v24, s[16:19], 0 offen offset:1024// 000000010290: E05C1400 80841418
	buffer_load_dwordx4 a[24:27], v25, s[16:19], 0 offen       // 000000010298: E05C1000 80841819
	buffer_load_dwordx4 a[28:31], v25, s[16:19], 0 offen offset:1024// 0000000102A0: E05C1400 80841C19
	buffer_load_dword v57, v55, s[36:39], 0 offen              // 0000000102A8: E0501000 80093937
	buffer_load_dwordx4 a[64:67], v30, s[20:23], 0 offen       // 0000000102B0: E05C1000 8085401E
	buffer_load_dwordx4 a[68:71], v31, s[20:23], 0 offen       // 0000000102B8: E05C1000 8085441F
	buffer_load_dwordx4 a[72:75], v32, s[20:23], 0 offen       // 0000000102C0: E05C1000 80854820
	buffer_load_dwordx4 a[76:79], v33, s[20:23], 0 offen       // 0000000102C8: E05C1000 80854C21
	buffer_load_dwordx4 a[80:83], v30, s[20:23], 0 offen offset:1024// 0000000102D0: E05C1400 8085501E
	buffer_load_dwordx4 a[84:87], v31, s[20:23], 0 offen offset:1024// 0000000102D8: E05C1400 8085541F
	buffer_load_dwordx4 a[88:91], v32, s[20:23], 0 offen offset:1024// 0000000102E0: E05C1400 80855820
	buffer_load_dwordx4 a[92:95], v33, s[20:23], 0 offen offset:1024// 0000000102E8: E05C1400 80855C21
	v_lshrrev_b32_e32 v64, 4, v0                               // 0000000102F0: 20800084
	v_lshlrev_b32_e32 v65, 1, v64                              // 0000000102F4: 24828081
	v_and_b32_e32 v64, 15, v0                                  // 0000000102F8: 2680008F
	v_mul_i32_i24_e32 v64, 0x42, v64                           // 0000000102FC: 0C8080FF 00000042
	v_add_u32_e32 v65, v64, v65                                // 000000010304: 68828340
	v_lshlrev_b32_e32 v4, 2, v65                               // 000000010308: 24088282
	s_mul_i32 s60, s7, 32                                      // 00000001030C: 923CA007
	v_add_u32_e32 v4, s60, v4                                  // 000000010310: 6808083C
	s_waitcnt vmcnt(16) lgkmcnt(0)                             // 000000010314: BF8C4070
	s_barrier                                                  // 000000010318: BF8A0000
	ds_read_b64 v[80:81], v4                                   // 00000001031C: D8EC0000 50000004
	ds_read_b64 v[84:85], v4 offset:128                        // 000000010324: D8EC0080 54000004
	s_waitcnt lgkmcnt(0)                                       // 00000001032C: BF8CC07F
	v_and_b32_e32 v64, 0xffff, v80                             // 000000010330: 2680A0FF 0000FFFF
	v_lshrrev_b32_e32 v65, 16, v80                             // 000000010338: 2082A090
	v_and_b32_e32 v66, 0xffff, v81                             // 00000001033C: 2684A2FF 0000FFFF
	v_lshrrev_b32_e32 v67, 16, v81                             // 000000010344: 2086A290
	v_cvt_f32_f16_e32 v80, v64                                 // 000000010348: 7EA01740
	v_cvt_f32_f16_e32 v81, v65                                 // 00000001034C: 7EA21741
	v_cvt_f32_f16_e32 v82, v66                                 // 000000010350: 7EA41742
	v_cvt_f32_f16_e32 v83, v67                                 // 000000010354: 7EA61743
	v_and_b32_e32 v64, 0xffff, v84                             // 000000010358: 2680A8FF 0000FFFF
	v_lshrrev_b32_e32 v65, 16, v84                             // 000000010360: 2082A890
	v_and_b32_e32 v66, 0xffff, v85                             // 000000010364: 2684AAFF 0000FFFF
	v_lshrrev_b32_e32 v67, 16, v85                             // 00000001036C: 2086AA90
	v_cvt_f32_f16_e32 v84, v64                                 // 000000010370: 7EA81740
	v_cvt_f32_f16_e32 v85, v65                                 // 000000010374: 7EAA1741
	v_cvt_f32_f16_e32 v86, v66                                 // 000000010378: 7EAC1742
	v_cvt_f32_f16_e32 v87, v67                                 // 00000001037C: 7EAE1743
	v_mov_b32_e32 v48, 0x358637bd                              // 000000010380: 7E6002FF 358637BD
	v_max3_f32 v48, |v80|, |v81|, v48                          // 000000010388: D1D30330 04C2A350
	v_max3_f32 v48, |v82|, |v83|, v48                          // 000000010390: D1D30330 04C2A752
	v_max3_f32 v48, |v84|, |v85|, v48                          // 000000010398: D1D30330 04C2AB54
	v_max3_f32 v48, |v86|, |v87|, v48                          // 0000000103A0: D1D30330 04C2AF56
	ds_write_b32 v8, v48 offset:16896                          // 0000000103A8: D81A4200 00003008
	s_waitcnt lgkmcnt(0)                                       // 0000000103B0: BF8CC07F
	s_barrier                                                  // 0000000103B4: BF8A0000
	ds_read_b32 v64, v7 offset:16896                           // 0000000103B8: D86C4200 40000007
	ds_read_b32 v65, v7 offset:16960                           // 0000000103C0: D86C4240 41000007
	ds_read_b32 v66, v7 offset:17024                           // 0000000103C8: D86C4280 42000007
	ds_read_b32 v67, v7 offset:17088                           // 0000000103D0: D86C42C0 43000007
	ds_read_b32 v68, v7 offset:17152                           // 0000000103D8: D86C4300 44000007
	ds_read_b32 v69, v7 offset:17216                           // 0000000103E0: D86C4340 45000007
	ds_read_b32 v70, v7 offset:17280                           // 0000000103E8: D86C4380 46000007
	ds_read_b32 v71, v7 offset:17344                           // 0000000103F0: D86C43C0 47000007
	ds_read_b32 v72, v7 offset:17408                           // 0000000103F8: D86C4400 48000007
	ds_read_b32 v73, v7 offset:17472                           // 000000010400: D86C4440 49000007
	ds_read_b32 v74, v7 offset:17536                           // 000000010408: D86C4480 4A000007
	ds_read_b32 v75, v7 offset:17600                           // 000000010410: D86C44C0 4B000007
	ds_read_b32 v76, v7 offset:17664                           // 000000010418: D86C4500 4C000007
	ds_read_b32 v77, v7 offset:17728                           // 000000010420: D86C4540 4D000007
	ds_read_b32 v78, v7 offset:17792                           // 000000010428: D86C4580 4E000007
	ds_read_b32 v79, v7 offset:17856                           // 000000010430: D86C45C0 4F000007
	s_waitcnt lgkmcnt(0)                                       // 000000010438: BF8CC07F
	v_max3_f32 v48, |v64|, |v65|, v48                          // 00000001043C: D1D30330 04C28340
	v_max3_f32 v48, |v66|, |v67|, v48                          // 000000010444: D1D30330 04C28742
	v_max3_f32 v48, |v68|, |v69|, v48                          // 00000001044C: D1D30330 04C28B44
	v_max3_f32 v48, |v70|, |v71|, v48                          // 000000010454: D1D30330 04C28F46
	v_max3_f32 v48, |v72|, |v73|, v48                          // 00000001045C: D1D30330 04C29348
	v_max3_f32 v48, |v74|, |v75|, v48                          // 000000010464: D1D30330 04C2974A
	v_max3_f32 v48, |v76|, |v77|, v48                          // 00000001046C: D1D30330 04C29B4C
	v_max3_f32 v48, |v78|, |v79|, v48                          // 000000010474: D1D30330 04C29F4E
	v_rcp_f32_e32 v48, v48                                     // 00000001047C: 7E604530
	s_nop 1                                                    // 000000010480: BF800001
	v_mul_f32_e32 v48, 0x43700000, v48                         // 000000010484: 0A6060FF 43700000
	v_mul_f32_e32 v80, v48, v80                                // 00000001048C: 0AA0A130
	v_mul_f32_e32 v81, v48, v81                                // 000000010490: 0AA2A330
	v_mul_f32_e32 v82, v48, v82                                // 000000010494: 0AA4A530
	v_mul_f32_e32 v83, v48, v83                                // 000000010498: 0AA6A730
	v_mul_f32_e32 v84, v48, v84                                // 00000001049C: 0AA8A930
	v_mul_f32_e32 v85, v48, v85                                // 0000000104A0: 0AAAAB30
	v_mul_f32_e32 v86, v48, v86                                // 0000000104A4: 0AACAD30
	v_mul_f32_e32 v87, v48, v87                                // 0000000104A8: 0AAEAF30
	v_rcp_f32_e32 v18, v48                                     // 0000000104AC: 7E244530
	v_cvt_pk_fp8_f32 v80, v80, v81                             // 0000000104B0: D2A20050 0002A350
	v_cvt_pk_fp8_f32 v80, v82, v83 op_sel:[0,0,1]              // 0000000104B8: D2A24050 0002A752
	v_cvt_pk_fp8_f32 v81, v84, v85                             // 0000000104C0: D2A20051 0002AB54
	v_cvt_pk_fp8_f32 v81, v86, v87 op_sel:[0,0,1]              // 0000000104C8: D2A24051 0002AF56
	ds_write_b32 v10, v80 offset:25088                         // 0000000104D0: D81A6200 0000500A
	ds_write_b32 v10, v81 offset:26112                         // 0000000104D8: D81A6600 0000510A
	s_waitcnt lgkmcnt(0)                                       // 0000000104E0: BF8CC07F
	s_barrier                                                  // 0000000104E4: BF8A0000
	ds_read_b64 v[80:81], v9 offset:25088                      // 0000000104E8: D8EC6200 50000009
	ds_read_b64 v[82:83], v9 offset:25216                      // 0000000104F0: D8EC6280 52000009
	ds_read_b64 v[84:85], v9 offset:26112                      // 0000000104F8: D8EC6600 54000009
	ds_read_b64 v[86:87], v9 offset:26240                      // 000000010500: D8EC6680 56000009
	v_mov_b32_e32 v208, 0                                      // 000000010508: 7FA00280
	v_mov_b32_e32 v209, 0                                      // 00000001050C: 7FA20280
	v_mov_b32_e32 v210, 0                                      // 000000010510: 7FA40280
	v_mov_b32_e32 v211, 0                                      // 000000010514: 7FA60280
	v_mov_b32_e32 v212, 0                                      // 000000010518: 7FA80280
	v_mov_b32_e32 v213, 0                                      // 00000001051C: 7FAA0280
	v_mov_b32_e32 v214, 0                                      // 000000010520: 7FAC0280
	v_mov_b32_e32 v215, 0                                      // 000000010524: 7FAE0280
	v_mov_b32_e32 v176, 0                                      // 000000010528: 7F600280
	v_mov_b32_e32 v177, 0                                      // 00000001052C: 7F620280
	v_mov_b32_e32 v178, 0                                      // 000000010530: 7F640280
	v_mov_b32_e32 v179, 0                                      // 000000010534: 7F660280
	v_mov_b32_e32 v180, 0                                      // 000000010538: 7F680280
	v_mov_b32_e32 v181, 0                                      // 00000001053C: 7F6A0280
	v_mov_b32_e32 v182, 0                                      // 000000010540: 7F6C0280
	v_mov_b32_e32 v183, 0                                      // 000000010544: 7F6E0280
	ds_read_b64 v[88:89], v4 offset:4224                       // 000000010548: D8EC1080 58000004
	ds_read_b64 v[92:93], v4 offset:4352                       // 000000010550: D8EC1100 5C000004
	s_waitcnt lgkmcnt(0)                                       // 000000010558: BF8CC07F
	v_and_b32_e32 v64, 0xffff, v88                             // 00000001055C: 2680B0FF 0000FFFF
	v_lshrrev_b32_e32 v65, 16, v88                             // 000000010564: 2082B090
	v_and_b32_e32 v66, 0xffff, v89                             // 000000010568: 2684B2FF 0000FFFF
	v_lshrrev_b32_e32 v67, 16, v89                             // 000000010570: 2086B290
	v_cvt_f32_f16_e32 v88, v64                                 // 000000010574: 7EB01740
	v_cvt_f32_f16_e32 v89, v65                                 // 000000010578: 7EB21741
	v_cvt_f32_f16_e32 v90, v66                                 // 00000001057C: 7EB41742
	v_cvt_f32_f16_e32 v91, v67                                 // 000000010580: 7EB61743
	v_and_b32_e32 v64, 0xffff, v92                             // 000000010584: 2680B8FF 0000FFFF
	v_lshrrev_b32_e32 v65, 16, v92                             // 00000001058C: 2082B890
	v_and_b32_e32 v66, 0xffff, v93                             // 000000010590: 2684BAFF 0000FFFF
	v_lshrrev_b32_e32 v67, 16, v93                             // 000000010598: 2086BA90
	v_cvt_f32_f16_e32 v92, v64                                 // 00000001059C: 7EB81740
	v_cvt_f32_f16_e32 v93, v65                                 // 0000000105A0: 7EBA1741
	v_cvt_f32_f16_e32 v94, v66                                 // 0000000105A4: 7EBC1742
	v_cvt_f32_f16_e32 v95, v67                                 // 0000000105A8: 7EBE1743
	v_mov_b32_e32 v48, 0x358637bd                              // 0000000105AC: 7E6002FF 358637BD
	v_max3_f32 v48, |v88|, |v89|, v48                          // 0000000105B4: D1D30330 04C2B358
	v_max3_f32 v48, |v90|, |v91|, v48                          // 0000000105BC: D1D30330 04C2B75A
	v_max3_f32 v48, |v92|, |v93|, v48                          // 0000000105C4: D1D30330 04C2BB5C
	v_max3_f32 v48, |v94|, |v95|, v48                          // 0000000105CC: D1D30330 04C2BF5E
	ds_write_b32 v8, v48 offset:16896                          // 0000000105D4: D81A4200 00003008
	s_waitcnt lgkmcnt(0)                                       // 0000000105DC: BF8CC07F
	s_barrier                                                  // 0000000105E0: BF8A0000
	ds_read_b32 v64, v7 offset:16896                           // 0000000105E4: D86C4200 40000007
	ds_read_b32 v65, v7 offset:16960                           // 0000000105EC: D86C4240 41000007
	ds_read_b32 v66, v7 offset:17024                           // 0000000105F4: D86C4280 42000007
	ds_read_b32 v67, v7 offset:17088                           // 0000000105FC: D86C42C0 43000007
	ds_read_b32 v68, v7 offset:17152                           // 000000010604: D86C4300 44000007
	ds_read_b32 v69, v7 offset:17216                           // 00000001060C: D86C4340 45000007
	ds_read_b32 v70, v7 offset:17280                           // 000000010614: D86C4380 46000007
	ds_read_b32 v71, v7 offset:17344                           // 00000001061C: D86C43C0 47000007
	ds_read_b32 v72, v7 offset:17408                           // 000000010624: D86C4400 48000007
	ds_read_b32 v73, v7 offset:17472                           // 00000001062C: D86C4440 49000007
	ds_read_b32 v74, v7 offset:17536                           // 000000010634: D86C4480 4A000007
	ds_read_b32 v75, v7 offset:17600                           // 00000001063C: D86C44C0 4B000007
	ds_read_b32 v76, v7 offset:17664                           // 000000010644: D86C4500 4C000007
	ds_read_b32 v77, v7 offset:17728                           // 00000001064C: D86C4540 4D000007
	ds_read_b32 v78, v7 offset:17792                           // 000000010654: D86C4580 4E000007
	ds_read_b32 v79, v7 offset:17856                           // 00000001065C: D86C45C0 4F000007
	s_waitcnt lgkmcnt(0)                                       // 000000010664: BF8CC07F
	v_max3_f32 v48, |v64|, |v65|, v48                          // 000000010668: D1D30330 04C28340
	v_max3_f32 v48, |v66|, |v67|, v48                          // 000000010670: D1D30330 04C28742
	v_max3_f32 v48, |v68|, |v69|, v48                          // 000000010678: D1D30330 04C28B44
	v_max3_f32 v48, |v70|, |v71|, v48                          // 000000010680: D1D30330 04C28F46
	v_max3_f32 v48, |v72|, |v73|, v48                          // 000000010688: D1D30330 04C29348
	v_max3_f32 v48, |v74|, |v75|, v48                          // 000000010690: D1D30330 04C2974A
	v_max3_f32 v48, |v76|, |v77|, v48                          // 000000010698: D1D30330 04C29B4C
	v_max3_f32 v48, |v78|, |v79|, v48                          // 0000000106A0: D1D30330 04C29F4E
	v_rcp_f32_e32 v48, v48                                     // 0000000106A8: 7E604530
	s_nop 1                                                    // 0000000106AC: BF800001
	v_mul_f32_e32 v48, 0x43700000, v48                         // 0000000106B0: 0A6060FF 43700000
	v_mul_f32_e32 v88, v48, v88                                // 0000000106B8: 0AB0B130
	v_mul_f32_e32 v89, v48, v89                                // 0000000106BC: 0AB2B330
	v_mul_f32_e32 v90, v48, v90                                // 0000000106C0: 0AB4B530
	v_mul_f32_e32 v91, v48, v91                                // 0000000106C4: 0AB6B730
	v_mul_f32_e32 v92, v48, v92                                // 0000000106C8: 0AB8B930
	v_mul_f32_e32 v93, v48, v93                                // 0000000106CC: 0ABABB30
	v_mul_f32_e32 v94, v48, v94                                // 0000000106D0: 0ABCBD30
	v_mul_f32_e32 v95, v48, v95                                // 0000000106D4: 0ABEBF30
	v_rcp_f32_e32 v19, v48                                     // 0000000106D8: 7E264530
	v_cvt_pk_fp8_f32 v88, v88, v89                             // 0000000106DC: D2A20058 0002B358
	v_cvt_pk_fp8_f32 v88, v90, v91 op_sel:[0,0,1]              // 0000000106E4: D2A24058 0002B75A
	v_cvt_pk_fp8_f32 v89, v92, v93                             // 0000000106EC: D2A20059 0002BB5C
	v_cvt_pk_fp8_f32 v89, v94, v95 op_sel:[0,0,1]              // 0000000106F4: D2A24059 0002BF5E
	ds_write_b32 v10, v88 offset:25088                         // 0000000106FC: D81A6200 0000580A
	ds_write_b32 v10, v89 offset:26112                         // 000000010704: D81A6600 0000590A
	s_waitcnt lgkmcnt(0)                                       // 00000001070C: BF8CC07F
	s_barrier                                                  // 000000010710: BF8A0000
	ds_read_b64 v[88:89], v9 offset:25088                      // 000000010714: D8EC6200 58000009
	ds_read_b64 v[90:91], v9 offset:25216                      // 00000001071C: D8EC6280 5A000009
	ds_read_b64 v[92:93], v9 offset:26112                      // 000000010724: D8EC6600 5C000009
	ds_read_b64 v[94:95], v9 offset:26240                      // 00000001072C: D8EC6680 5E000009
	v_mov_b32_e32 v216, 0                                      // 000000010734: 7FB00280
	v_mov_b32_e32 v217, 0                                      // 000000010738: 7FB20280
	v_mov_b32_e32 v218, 0                                      // 00000001073C: 7FB40280
	v_mov_b32_e32 v219, 0                                      // 000000010740: 7FB60280
	v_mov_b32_e32 v220, 0                                      // 000000010744: 7FB80280
	v_mov_b32_e32 v221, 0                                      // 000000010748: 7FBA0280
	v_mov_b32_e32 v222, 0                                      // 00000001074C: 7FBC0280
	v_mov_b32_e32 v223, 0                                      // 000000010750: 7FBE0280
	v_mov_b32_e32 v184, 0                                      // 000000010754: 7F700280
	v_mov_b32_e32 v185, 0                                      // 000000010758: 7F720280
	v_mov_b32_e32 v186, 0                                      // 00000001075C: 7F740280
	v_mov_b32_e32 v187, 0                                      // 000000010760: 7F760280
	v_mov_b32_e32 v188, 0                                      // 000000010764: 7F780280
	v_mov_b32_e32 v189, 0                                      // 000000010768: 7F7A0280
	v_mov_b32_e32 v190, 0                                      // 00000001076C: 7F7C0280
	v_mov_b32_e32 v191, 0                                      // 000000010770: 7F7E0280
	ds_read_b64 v[96:97], v4 offset:8448                       // 000000010774: D8EC2100 60000004
	ds_read_b64 v[100:101], v4 offset:8576                     // 00000001077C: D8EC2180 64000004
	s_waitcnt lgkmcnt(0)                                       // 000000010784: BF8CC07F
	v_and_b32_e32 v64, 0xffff, v96                             // 000000010788: 2680C0FF 0000FFFF
	v_lshrrev_b32_e32 v65, 16, v96                             // 000000010790: 2082C090
	v_and_b32_e32 v66, 0xffff, v97                             // 000000010794: 2684C2FF 0000FFFF
	v_lshrrev_b32_e32 v67, 16, v97                             // 00000001079C: 2086C290
	v_cvt_f32_f16_e32 v96, v64                                 // 0000000107A0: 7EC01740
	v_cvt_f32_f16_e32 v97, v65                                 // 0000000107A4: 7EC21741
	v_cvt_f32_f16_e32 v98, v66                                 // 0000000107A8: 7EC41742
	v_cvt_f32_f16_e32 v99, v67                                 // 0000000107AC: 7EC61743
	v_and_b32_e32 v64, 0xffff, v100                            // 0000000107B0: 2680C8FF 0000FFFF
	v_lshrrev_b32_e32 v65, 16, v100                            // 0000000107B8: 2082C890
	v_and_b32_e32 v66, 0xffff, v101                            // 0000000107BC: 2684CAFF 0000FFFF
	v_lshrrev_b32_e32 v67, 16, v101                            // 0000000107C4: 2086CA90
	v_cvt_f32_f16_e32 v100, v64                                // 0000000107C8: 7EC81740
	v_cvt_f32_f16_e32 v101, v65                                // 0000000107CC: 7ECA1741
	v_cvt_f32_f16_e32 v102, v66                                // 0000000107D0: 7ECC1742
	v_cvt_f32_f16_e32 v103, v67                                // 0000000107D4: 7ECE1743
	v_mov_b32_e32 v48, 0x358637bd                              // 0000000107D8: 7E6002FF 358637BD
	v_max3_f32 v48, |v96|, |v97|, v48                          // 0000000107E0: D1D30330 04C2C360
	v_max3_f32 v48, |v98|, |v99|, v48                          // 0000000107E8: D1D30330 04C2C762
	v_max3_f32 v48, |v100|, |v101|, v48                        // 0000000107F0: D1D30330 04C2CB64
	v_max3_f32 v48, |v102|, |v103|, v48                        // 0000000107F8: D1D30330 04C2CF66
	ds_write_b32 v8, v48 offset:16896                          // 000000010800: D81A4200 00003008
	s_waitcnt lgkmcnt(0)                                       // 000000010808: BF8CC07F
	s_barrier                                                  // 00000001080C: BF8A0000
	ds_read_b32 v64, v7 offset:16896                           // 000000010810: D86C4200 40000007
	ds_read_b32 v65, v7 offset:16960                           // 000000010818: D86C4240 41000007
	ds_read_b32 v66, v7 offset:17024                           // 000000010820: D86C4280 42000007
	ds_read_b32 v67, v7 offset:17088                           // 000000010828: D86C42C0 43000007
	ds_read_b32 v68, v7 offset:17152                           // 000000010830: D86C4300 44000007
	ds_read_b32 v69, v7 offset:17216                           // 000000010838: D86C4340 45000007
	ds_read_b32 v70, v7 offset:17280                           // 000000010840: D86C4380 46000007
	ds_read_b32 v71, v7 offset:17344                           // 000000010848: D86C43C0 47000007
	ds_read_b32 v72, v7 offset:17408                           // 000000010850: D86C4400 48000007
	ds_read_b32 v73, v7 offset:17472                           // 000000010858: D86C4440 49000007
	ds_read_b32 v74, v7 offset:17536                           // 000000010860: D86C4480 4A000007
	ds_read_b32 v75, v7 offset:17600                           // 000000010868: D86C44C0 4B000007
	ds_read_b32 v76, v7 offset:17664                           // 000000010870: D86C4500 4C000007
	ds_read_b32 v77, v7 offset:17728                           // 000000010878: D86C4540 4D000007
	ds_read_b32 v78, v7 offset:17792                           // 000000010880: D86C4580 4E000007
	ds_read_b32 v79, v7 offset:17856                           // 000000010888: D86C45C0 4F000007
	s_waitcnt lgkmcnt(0)                                       // 000000010890: BF8CC07F
	v_max3_f32 v48, |v64|, |v65|, v48                          // 000000010894: D1D30330 04C28340
	v_max3_f32 v48, |v66|, |v67|, v48                          // 00000001089C: D1D30330 04C28742
	v_max3_f32 v48, |v68|, |v69|, v48                          // 0000000108A4: D1D30330 04C28B44
	v_max3_f32 v48, |v70|, |v71|, v48                          // 0000000108AC: D1D30330 04C28F46
	v_max3_f32 v48, |v72|, |v73|, v48                          // 0000000108B4: D1D30330 04C29348
	v_max3_f32 v48, |v74|, |v75|, v48                          // 0000000108BC: D1D30330 04C2974A
	v_max3_f32 v48, |v76|, |v77|, v48                          // 0000000108C4: D1D30330 04C29B4C
	v_max3_f32 v48, |v78|, |v79|, v48                          // 0000000108CC: D1D30330 04C29F4E
	v_rcp_f32_e32 v48, v48                                     // 0000000108D4: 7E604530
	s_nop 1                                                    // 0000000108D8: BF800001
	v_mul_f32_e32 v48, 0x43700000, v48                         // 0000000108DC: 0A6060FF 43700000
	v_mul_f32_e32 v96, v48, v96                                // 0000000108E4: 0AC0C130
	v_mul_f32_e32 v97, v48, v97                                // 0000000108E8: 0AC2C330
	v_mul_f32_e32 v98, v48, v98                                // 0000000108EC: 0AC4C530
	v_mul_f32_e32 v99, v48, v99                                // 0000000108F0: 0AC6C730
	v_mul_f32_e32 v100, v48, v100                              // 0000000108F4: 0AC8C930
	v_mul_f32_e32 v101, v48, v101                              // 0000000108F8: 0ACACB30
	v_mul_f32_e32 v102, v48, v102                              // 0000000108FC: 0ACCCD30
	v_mul_f32_e32 v103, v48, v103                              // 000000010900: 0ACECF30
	v_rcp_f32_e32 v20, v48                                     // 000000010904: 7E284530
	v_cvt_pk_fp8_f32 v96, v96, v97                             // 000000010908: D2A20060 0002C360
	v_cvt_pk_fp8_f32 v96, v98, v99 op_sel:[0,0,1]              // 000000010910: D2A24060 0002C762
	v_cvt_pk_fp8_f32 v97, v100, v101                           // 000000010918: D2A20061 0002CB64
	v_cvt_pk_fp8_f32 v97, v102, v103 op_sel:[0,0,1]            // 000000010920: D2A24061 0002CF66
	ds_write_b32 v10, v96 offset:25088                         // 000000010928: D81A6200 0000600A
	ds_write_b32 v10, v97 offset:26112                         // 000000010930: D81A6600 0000610A
	s_waitcnt lgkmcnt(0)                                       // 000000010938: BF8CC07F
	s_barrier                                                  // 00000001093C: BF8A0000
	ds_read_b64 v[96:97], v9 offset:25088                      // 000000010940: D8EC6200 60000009
	ds_read_b64 v[98:99], v9 offset:25216                      // 000000010948: D8EC6280 62000009
	ds_read_b64 v[100:101], v9 offset:26112                    // 000000010950: D8EC6600 64000009
	ds_read_b64 v[102:103], v9 offset:26240                    // 000000010958: D8EC6680 66000009
	v_mov_b32_e32 v224, 0                                      // 000000010960: 7FC00280
	v_mov_b32_e32 v225, 0                                      // 000000010964: 7FC20280
	v_mov_b32_e32 v226, 0                                      // 000000010968: 7FC40280
	v_mov_b32_e32 v227, 0                                      // 00000001096C: 7FC60280
	v_mov_b32_e32 v228, 0                                      // 000000010970: 7FC80280
	v_mov_b32_e32 v229, 0                                      // 000000010974: 7FCA0280
	v_mov_b32_e32 v230, 0                                      // 000000010978: 7FCC0280
	v_mov_b32_e32 v231, 0                                      // 00000001097C: 7FCE0280
	v_mov_b32_e32 v192, 0                                      // 000000010980: 7F800280
	v_mov_b32_e32 v193, 0                                      // 000000010984: 7F820280
	v_mov_b32_e32 v194, 0                                      // 000000010988: 7F840280
	v_mov_b32_e32 v195, 0                                      // 00000001098C: 7F860280
	v_mov_b32_e32 v196, 0                                      // 000000010990: 7F880280
	v_mov_b32_e32 v197, 0                                      // 000000010994: 7F8A0280
	v_mov_b32_e32 v198, 0                                      // 000000010998: 7F8C0280
	v_mov_b32_e32 v199, 0                                      // 00000001099C: 7F8E0280
	s_waitcnt vmcnt(8) lgkmcnt(0)                              // 0000000109A0: BF8C0078
	s_barrier                                                  // 0000000109A4: BF8A0000
	s_cmp_lt_u32 s73, 16                                       // 0000000109A8: BF0A9049
	s_cbranch_scc1 label_5833                                  // 0000000109AC: BF851E47
	s_cmp_lt_i32 s7, 2                                         // 0000000109B0: BF048207
	s_cbranch_scc0 label_4912                                  // 0000000109B4: BF840F24

00000000000109b8 <label_39EE>:
	s_waitcnt vmcnt(8) lgkmcnt(0)                              // 0000000109B8: BF8C0078
	v_mul_u32_u24_dpp v64, v17, v54 row_newbcast:0 row_mask:0xf bank_mask:0xf// 0000000109BC: 10806CFA FF015011
	v_mul_u32_u24_dpp v65, v17, v54 row_newbcast:4 row_mask:0xf bank_mask:0xf// 0000000109C4: 10826CFA FF015411
	v_mul_u32_u24_dpp v66, v17, v54 row_newbcast:8 row_mask:0xf bank_mask:0xf// 0000000109CC: 10846CFA FF015811
	v_mul_u32_u24_dpp v67, v17, v54 row_newbcast:12 row_mask:0xf bank_mask:0xf// 0000000109D4: 10866CFA FF015C11
	v_add_u32_e32 v26, v64, v5                                 // 0000000109DC: 68340B40
	v_add_u32_e32 v27, v65, v5                                 // 0000000109E0: 68360B41
	v_add_u32_e32 v28, v66, v5                                 // 0000000109E4: 68380B42
	v_add_u32_e32 v29, v67, v5                                 // 0000000109E8: 683A0B43
	v_mul_u32_u24_dpp v64, v17, v63 quad_perm:[0,0,0,0] row_mask:0xf bank_mask:0xf// 0000000109EC: 10807EFA FF000011
	v_add_u32_e32 v3, v64, v59                                 // 0000000109F4: 68067740
	v_mul_u32_u24_dpp v64, v17, v63 quad_perm:[0,0,0,0] row_mask:0xf bank_mask:0xf// 0000000109F8: 10807EFA FF000011
	v_add_u32_e32 v56, v64, v60                                // 000000010A00: 68707940
	v_mfma_f32_16x16x32_fp8_fp8 v[112:115], a[0:1], v[80:81], 0// 000000010A04: D3F30070 0A02A100
	v_mfma_f32_16x16x32_fp8_fp8 v[112:115], a[2:3], v[82:83], v[112:115]// 000000010A0C: D3F30070 0DC2A502
	buffer_load_dwordx4 a[32:35], v26, s[16:19], 0 offen       // 000000010A14: E05C1000 8084201A
	v_mfma_f32_16x16x32_fp8_fp8 v[112:115], a[4:5], v[84:85], v[112:115]// 000000010A1C: D3F30070 0DC2A904
	v_mfma_f32_16x16x32_fp8_fp8 v[112:115], a[6:7], v[86:87], v[112:115]// 000000010A24: D3F30070 0DC2AD06
	buffer_load_dword v16, v1, s[24:27], 0 offen               // 000000010A2C: E0501000 80061001
	v_mfma_f32_16x16x32_fp8_fp8 v[116:119], a[8:9], v[80:81], 0// 000000010A34: D3F30074 0A02A108
	v_mfma_f32_16x16x32_fp8_fp8 v[116:119], a[10:11], v[82:83], v[116:119]// 000000010A3C: D3F30074 0DD2A50A
	buffer_load_dwordx4 a[36:39], v26, s[16:19], 0 offen offset:1024// 000000010A44: E05C1400 8084241A
	v_mfma_f32_16x16x32_fp8_fp8 v[116:119], a[12:13], v[84:85], v[116:119]// 000000010A4C: D3F30074 0DD2A90C
	v_mfma_f32_16x16x32_fp8_fp8 v[116:119], a[14:15], v[86:87], v[116:119]// 000000010A54: D3F30074 0DD2AD0E
	v_mfma_f32_16x16x32_fp8_fp8 v[120:123], a[16:17], v[80:81], 0// 000000010A5C: D3F30078 0A02A110
	v_mfma_f32_16x16x32_fp8_fp8 v[120:123], a[18:19], v[82:83], v[120:123]// 000000010A64: D3F30078 0DE2A512
	buffer_load_dwordx4 a[40:43], v27, s[16:19], 0 offen       // 000000010A6C: E05C1000 8084281B
	v_mfma_f32_16x16x32_fp8_fp8 v[120:123], a[20:21], v[84:85], v[120:123]// 000000010A74: D3F30078 0DE2A914
	v_mfma_f32_16x16x32_fp8_fp8 v[120:123], a[22:23], v[86:87], v[120:123]// 000000010A7C: D3F30078 0DE2AD16
	v_mfma_f32_16x16x32_fp8_fp8 v[124:127], a[24:25], v[80:81], 0// 000000010A84: D3F3007C 0A02A118
	v_mfma_f32_16x16x32_fp8_fp8 v[124:127], a[26:27], v[82:83], v[124:127]// 000000010A8C: D3F3007C 0DF2A51A
	buffer_load_dwordx4 a[44:47], v27, s[16:19], 0 offen offset:1024// 000000010A94: E05C1400 80842C1B
	v_mfma_f32_16x16x32_fp8_fp8 v[124:127], a[28:29], v[84:85], v[124:127]// 000000010A9C: D3F3007C 0DF2A91C
	v_mfma_f32_16x16x32_fp8_fp8 v[124:127], a[30:31], v[86:87], v[124:127]// 000000010AA4: D3F3007C 0DF2AD1E
	v_mfma_f32_16x16x32_fp8_fp8 v[128:131], a[0:1], v[88:89], 0// 000000010AAC: D3F30080 0A02B100
	v_mfma_f32_16x16x32_fp8_fp8 v[128:131], a[2:3], v[90:91], v[128:131]// 000000010AB4: D3F30080 0E02B502
	v_mfma_f32_16x16x32_fp8_fp8 v[128:131], a[4:5], v[92:93], v[128:131]// 000000010ABC: D3F30080 0E02B904
	v_mfma_f32_16x16x32_fp8_fp8 v[128:131], a[6:7], v[94:95], v[128:131]// 000000010AC4: D3F30080 0E02BD06
	v_mfma_f32_16x16x32_fp8_fp8 v[132:135], a[8:9], v[88:89], 0// 000000010ACC: D3F30084 0A02B108
	v_mfma_f32_16x16x32_fp8_fp8 v[132:135], a[10:11], v[90:91], v[132:135]// 000000010AD4: D3F30084 0E12B50A
	v_mfma_f32_16x16x32_fp8_fp8 v[132:135], a[12:13], v[92:93], v[132:135]// 000000010ADC: D3F30084 0E12B90C
	v_mfma_f32_16x16x32_fp8_fp8 v[132:135], a[14:15], v[94:95], v[132:135]// 000000010AE4: D3F30084 0E12BD0E
	v_mfma_f32_16x16x32_fp8_fp8 v[136:139], a[16:17], v[88:89], 0// 000000010AEC: D3F30088 0A02B110
	v_mfma_f32_16x16x32_fp8_fp8 v[136:139], a[18:19], v[90:91], v[136:139]// 000000010AF4: D3F30088 0E22B512
	v_mfma_f32_16x16x32_fp8_fp8 v[136:139], a[20:21], v[92:93], v[136:139]// 000000010AFC: D3F30088 0E22B914
	v_mfma_f32_16x16x32_fp8_fp8 v[136:139], a[22:23], v[94:95], v[136:139]// 000000010B04: D3F30088 0E22BD16
	v_mfma_f32_16x16x32_fp8_fp8 v[140:143], a[24:25], v[88:89], 0// 000000010B0C: D3F3008C 0A02B118
	v_mfma_f32_16x16x32_fp8_fp8 v[140:143], a[26:27], v[90:91], v[140:143]// 000000010B14: D3F3008C 0E32B51A
	v_mfma_f32_16x16x32_fp8_fp8 v[140:143], a[28:29], v[92:93], v[140:143]// 000000010B1C: D3F3008C 0E32B91C
	v_mfma_f32_16x16x32_fp8_fp8 v[140:143], a[30:31], v[94:95], v[140:143]// 000000010B24: D3F3008C 0E32BD1E
	v_mfma_f32_16x16x32_fp8_fp8 v[144:147], a[0:1], v[96:97], 0// 000000010B2C: D3F30090 0A02C100
	v_mfma_f32_16x16x32_fp8_fp8 v[144:147], a[2:3], v[98:99], v[144:147]// 000000010B34: D3F30090 0E42C502
	v_mfma_f32_16x16x32_fp8_fp8 v[144:147], a[4:5], v[100:101], v[144:147]// 000000010B3C: D3F30090 0E42C904
	v_mfma_f32_16x16x32_fp8_fp8 v[144:147], a[6:7], v[102:103], v[144:147]// 000000010B44: D3F30090 0E42CD06
	v_mfma_f32_16x16x32_fp8_fp8 v[148:151], a[8:9], v[96:97], 0// 000000010B4C: D3F30094 0A02C108
	v_mfma_f32_16x16x32_fp8_fp8 v[148:151], a[10:11], v[98:99], v[148:151]// 000000010B54: D3F30094 0E52C50A
	v_mfma_f32_16x16x32_fp8_fp8 v[148:151], a[12:13], v[100:101], v[148:151]// 000000010B5C: D3F30094 0E52C90C
	v_mfma_f32_16x16x32_fp8_fp8 v[148:151], a[14:15], v[102:103], v[148:151]// 000000010B64: D3F30094 0E52CD0E
	v_mfma_f32_16x16x32_fp8_fp8 v[152:155], a[16:17], v[96:97], 0// 000000010B6C: D3F30098 0A02C110
	v_mfma_f32_16x16x32_fp8_fp8 v[152:155], a[18:19], v[98:99], v[152:155]// 000000010B74: D3F30098 0E62C512
	v_mfma_f32_16x16x32_fp8_fp8 v[152:155], a[20:21], v[100:101], v[152:155]// 000000010B7C: D3F30098 0E62C914
	v_mfma_f32_16x16x32_fp8_fp8 v[152:155], a[22:23], v[102:103], v[152:155]// 000000010B84: D3F30098 0E62CD16
	v_mfma_f32_16x16x32_fp8_fp8 v[156:159], a[24:25], v[96:97], 0// 000000010B8C: D3F3009C 0A02C118
	v_mfma_f32_16x16x32_fp8_fp8 v[156:159], a[26:27], v[98:99], v[156:159]// 000000010B94: D3F3009C 0E72C51A
	v_mfma_f32_16x16x32_fp8_fp8 v[156:159], a[28:29], v[100:101], v[156:159]// 000000010B9C: D3F3009C 0E72C91C
	v_mfma_f32_16x16x32_fp8_fp8 v[156:159], a[30:31], v[102:103], v[156:159]// 000000010BA4: D3F3009C 0E72CD1E
	buffer_load_dword v43, v3, s[32:35], 0 offen               // 000000010BAC: E0501000 80082B03
	v_mov_b32_dpp v64, v42 row_shr:4 row_mask:0xf bank_mask:0xf// 000000010BB4: 7E8002FA FF01142A
	v_mov_b32_dpp v65, v42 row_shl:4 row_mask:0xf bank_mask:0xf// 000000010BBC: 7E8202FA FF01042A
	v_cndmask_b32_e64 v248, v42, v64, s[44:45]                 // 000000010BC4: D10000F8 00B2812A
	v_cndmask_b32_e64 v249, v65, v42, s[44:45]                 // 000000010BCC: D10000F9 00B25541
	v_mov_b32_dpp v64, v248 row_shr:8 row_mask:0xf bank_mask:0xf// 000000010BD4: 7E8002FA FF0118F8
	v_mov_b32_dpp v65, v248 row_shl:8 row_mask:0xf bank_mask:0xf// 000000010BDC: 7E8202FA FF0108F8
	v_mov_b32_dpp v66, v249 row_shr:8 row_mask:0xf bank_mask:0xf// 000000010BE4: 7E8402FA FF0118F9
	v_mov_b32_dpp v67, v249 row_shl:8 row_mask:0xf bank_mask:0xf// 000000010BEC: 7E8602FA FF0108F9
	v_mov_b32_e32 v68, v248                                    // 000000010BF4: 7E8803F8
	v_mov_b32_e32 v69, v249                                    // 000000010BF8: 7E8A03F9
	v_cndmask_b32_e64 v248, v68, v64, s[42:43]                 // 000000010BFC: D10000F8 00AA8144
	v_cndmask_b32_e64 v250, v68, v65, s[78:79]                 // 000000010C04: D10000FA 013A8344
	v_cndmask_b32_e64 v249, v69, v66, s[42:43]                 // 000000010C0C: D10000F9 00AA8545
	v_cndmask_b32_e64 v251, v69, v67, s[78:79]                 // 000000010C14: D10000FB 013A8745
	v_mov_b32_dpp v64, v57 row_shr:4 row_mask:0xf bank_mask:0xf// 000000010C1C: 7E8002FA FF011439
	v_mov_b32_dpp v65, v57 row_shl:4 row_mask:0xf bank_mask:0xf// 000000010C24: 7E8202FA FF010439
	v_cndmask_b32_e64 v252, v57, v64, s[44:45]                 // 000000010C2C: D10000FC 00B28139
	v_cndmask_b32_e64 v253, v65, v57, s[44:45]                 // 000000010C34: D10000FD 00B27341
	v_mov_b32_dpp v64, v252 row_shr:8 row_mask:0xf bank_mask:0xf// 000000010C3C: 7E8002FA FF0118FC
	v_mov_b32_dpp v65, v252 row_shl:8 row_mask:0xf bank_mask:0xf// 000000010C44: 7E8202FA FF0108FC
	v_mov_b32_dpp v66, v253 row_shr:8 row_mask:0xf bank_mask:0xf// 000000010C4C: 7E8402FA FF0118FD
	v_mov_b32_dpp v67, v253 row_shl:8 row_mask:0xf bank_mask:0xf// 000000010C54: 7E8602FA FF0108FD
	v_mov_b32_e32 v68, v252                                    // 000000010C5C: 7E8803FC
	v_mov_b32_e32 v69, v253                                    // 000000010C60: 7E8A03FD
	v_cndmask_b32_e64 v252, v68, v64, s[42:43]                 // 000000010C64: D10000FC 00AA8144
	v_cndmask_b32_e64 v254, v68, v65, s[78:79]                 // 000000010C6C: D10000FE 013A8344
	v_cndmask_b32_e64 v253, v69, v66, s[42:43]                 // 000000010C74: D10000FD 00AA8545
	v_cndmask_b32_e64 v255, v69, v67, s[78:79]                 // 000000010C7C: D10000FF 013A8745
	buffer_load_dword v58, v56, s[36:39], 0 offen              // 000000010C84: E0501000 80093A38
	v_mul_f32_e32 v112, v18, v112                              // 000000010C8C: 0AE0E112
	v_mul_f32_e32 v113, v18, v113                              // 000000010C90: 0AE2E312
	v_mul_f32_e32 v114, v18, v114                              // 000000010C94: 0AE4E512
	v_mul_f32_e32 v115, v18, v115                              // 000000010C98: 0AE6E712
	v_mul_f32_e32 v116, v18, v116                              // 000000010C9C: 0AE8E912
	v_mul_f32_e32 v117, v18, v117                              // 000000010CA0: 0AEAEB12
	v_mul_f32_e32 v118, v18, v118                              // 000000010CA4: 0AECED12
	v_mul_f32_e32 v119, v18, v119                              // 000000010CA8: 0AEEEF12
	v_mul_f32_e32 v120, v18, v120                              // 000000010CAC: 0AF0F112
	v_mul_f32_e32 v121, v18, v121                              // 000000010CB0: 0AF2F312
	v_mul_f32_e32 v122, v18, v122                              // 000000010CB4: 0AF4F512
	v_mul_f32_e32 v123, v18, v123                              // 000000010CB8: 0AF6F712
	v_mul_f32_e32 v124, v18, v124                              // 000000010CBC: 0AF8F912
	v_mul_f32_e32 v125, v18, v125                              // 000000010CC0: 0AFAFB12
	v_mul_f32_e32 v126, v18, v126                              // 000000010CC4: 0AFCFD12
	v_mul_f32_e32 v127, v18, v127                              // 000000010CC8: 0AFEFF12
	buffer_load_dwordx4 a[48:51], v28, s[16:19], 0 offen       // 000000010CCC: E05C1000 8084301C
	v_mul_f32_dpp v112, v248, v112 quad_perm:[0,0,0,0] row_mask:0xf bank_mask:0xf// 000000010CD4: 0AE0E0FA FF0000F8
	v_mul_f32_dpp v113, v248, v113 quad_perm:[1,1,1,1] row_mask:0xf bank_mask:0xf// 000000010CDC: 0AE2E2FA FF0055F8
	v_mul_f32_dpp v114, v248, v114 quad_perm:[2,2,2,2] row_mask:0xf bank_mask:0xf// 000000010CE4: 0AE4E4FA FF00AAF8
	v_mul_f32_dpp v115, v248, v115 quad_perm:[3,3,3,3] row_mask:0xf bank_mask:0xf// 000000010CEC: 0AE6E6FA FF00FFF8
	v_mul_f32_dpp v116, v249, v116 quad_perm:[0,0,0,0] row_mask:0xf bank_mask:0xf// 000000010CF4: 0AE8E8FA FF0000F9
	v_mul_f32_dpp v117, v249, v117 quad_perm:[1,1,1,1] row_mask:0xf bank_mask:0xf// 000000010CFC: 0AEAEAFA FF0055F9
	v_mul_f32_dpp v118, v249, v118 quad_perm:[2,2,2,2] row_mask:0xf bank_mask:0xf// 000000010D04: 0AECECFA FF00AAF9
	v_mul_f32_dpp v119, v249, v119 quad_perm:[3,3,3,3] row_mask:0xf bank_mask:0xf// 000000010D0C: 0AEEEEFA FF00FFF9
	v_mul_f32_dpp v120, v250, v120 quad_perm:[0,0,0,0] row_mask:0xf bank_mask:0xf// 000000010D14: 0AF0F0FA FF0000FA
	v_mul_f32_dpp v121, v250, v121 quad_perm:[1,1,1,1] row_mask:0xf bank_mask:0xf// 000000010D1C: 0AF2F2FA FF0055FA
	v_mul_f32_dpp v122, v250, v122 quad_perm:[2,2,2,2] row_mask:0xf bank_mask:0xf// 000000010D24: 0AF4F4FA FF00AAFA
	v_mul_f32_dpp v123, v250, v123 quad_perm:[3,3,3,3] row_mask:0xf bank_mask:0xf// 000000010D2C: 0AF6F6FA FF00FFFA
	v_mul_f32_dpp v124, v251, v124 quad_perm:[0,0,0,0] row_mask:0xf bank_mask:0xf// 000000010D34: 0AF8F8FA FF0000FB
	v_mul_f32_dpp v125, v251, v125 quad_perm:[1,1,1,1] row_mask:0xf bank_mask:0xf// 000000010D3C: 0AFAFAFA FF0055FB
	v_mul_f32_dpp v126, v251, v126 quad_perm:[2,2,2,2] row_mask:0xf bank_mask:0xf// 000000010D44: 0AFCFCFA FF00AAFB
	v_mul_f32_dpp v127, v251, v127 quad_perm:[3,3,3,3] row_mask:0xf bank_mask:0xf// 000000010D4C: 0AFEFEFA FF00FFFB
	buffer_load_dwordx4 a[52:55], v28, s[16:19], 0 offen offset:1024// 000000010D54: E05C1400 8084341C
	s_cmp_le_i32 s90, s89                                      // 000000010D5C: BF05595A
	s_cbranch_scc1 label_3B4A                                  // 000000010D60: BF850071
	v_mov_b32_e32 v66, 0xff800000                              // 000000010D64: 7E8402FF FF800000
	s_mov_b32 s60, s90                                         // 000000010D6C: BEBC005A
	s_add_u32 s61, s89, 0xff                                   // 000000010D70: 803DFF59 000000FF
	v_mov_b32_e32 v64, s61                                     // 000000010D78: 7E80023D
	v_lshrrev_b32_e32 v240, 4, v0                              // 000000010D7C: 21E00084
	v_mul_i32_i24_e32 v240, 4, v240                            // 000000010D80: 0DE1E084
	v_add_u32_e32 v240, s60, v240                              // 000000010D84: 69E1E03C
	s_mov_b32 s61, 0                                           // 000000010D88: BEBD0080
	s_mul_i32 s60, 16, s7                                      // 000000010D8C: 923C0790
	v_sub_u32_e64 v240, v240, s61                              // 000000010D90: D13500F0 00007BF0
	v_add_u32_e32 v240, s60, v240                              // 000000010D98: 69E1E03C
	v_add_u32_e32 v241, 1, v240                                // 000000010D9C: 69E3E081
	v_add_u32_e32 v242, 2, v240                                // 000000010DA0: 69E5E082
	v_add_u32_e32 v243, 3, v240                                // 000000010DA4: 69E7E083
	v_cmp_le_u32_e64 s[40:41], v240, v64                       // 000000010DA8: D0CB0028 000281F0
	v_add_u32_e32 v240, 64, v240                               // 000000010DB0: 69E1E0C0
	s_nop 0                                                    // 000000010DB4: BF800000
	v_cndmask_b32_e64 v112, v66, v112, s[40:41]                // 000000010DB8: D1000070 00A2E142
	v_cmp_le_u32_e64 s[40:41], v241, v64                       // 000000010DC0: D0CB0028 000281F1
	v_add_u32_e32 v241, 64, v241                               // 000000010DC8: 69E3E2C0
	s_nop 0                                                    // 000000010DCC: BF800000
	v_cndmask_b32_e64 v113, v66, v113, s[40:41]                // 000000010DD0: D1000071 00A2E342
	v_cmp_le_u32_e64 s[40:41], v242, v64                       // 000000010DD8: D0CB0028 000281F2
	v_add_u32_e32 v242, 64, v242                               // 000000010DE0: 69E5E4C0
	s_nop 0                                                    // 000000010DE4: BF800000
	v_cndmask_b32_e64 v114, v66, v114, s[40:41]                // 000000010DE8: D1000072 00A2E542
	v_cmp_le_u32_e64 s[40:41], v243, v64                       // 000000010DF0: D0CB0028 000281F3
	v_add_u32_e32 v243, 64, v243                               // 000000010DF8: 69E7E6C0
	s_nop 0                                                    // 000000010DFC: BF800000
	v_cndmask_b32_e64 v115, v66, v115, s[40:41]                // 000000010E00: D1000073 00A2E742
	v_cmp_le_u32_e64 s[40:41], v240, v64                       // 000000010E08: D0CB0028 000281F0
	v_add_u32_e32 v240, 64, v240                               // 000000010E10: 69E1E0C0
	s_nop 0                                                    // 000000010E14: BF800000
	v_cndmask_b32_e64 v116, v66, v116, s[40:41]                // 000000010E18: D1000074 00A2E942
	v_cmp_le_u32_e64 s[40:41], v241, v64                       // 000000010E20: D0CB0028 000281F1
	v_add_u32_e32 v241, 64, v241                               // 000000010E28: 69E3E2C0
	s_nop 0                                                    // 000000010E2C: BF800000
	v_cndmask_b32_e64 v117, v66, v117, s[40:41]                // 000000010E30: D1000075 00A2EB42
	v_cmp_le_u32_e64 s[40:41], v242, v64                       // 000000010E38: D0CB0028 000281F2
	v_add_u32_e32 v242, 64, v242                               // 000000010E40: 69E5E4C0
	s_nop 0                                                    // 000000010E44: BF800000
	v_cndmask_b32_e64 v118, v66, v118, s[40:41]                // 000000010E48: D1000076 00A2ED42
	v_cmp_le_u32_e64 s[40:41], v243, v64                       // 000000010E50: D0CB0028 000281F3
	v_add_u32_e32 v243, 64, v243                               // 000000010E58: 69E7E6C0
	s_nop 0                                                    // 000000010E5C: BF800000
	v_cndmask_b32_e64 v119, v66, v119, s[40:41]                // 000000010E60: D1000077 00A2EF42
	v_cmp_le_u32_e64 s[40:41], v240, v64                       // 000000010E68: D0CB0028 000281F0
	v_add_u32_e32 v240, 64, v240                               // 000000010E70: 69E1E0C0
	s_nop 0                                                    // 000000010E74: BF800000
	v_cndmask_b32_e64 v120, v66, v120, s[40:41]                // 000000010E78: D1000078 00A2F142
	v_cmp_le_u32_e64 s[40:41], v241, v64                       // 000000010E80: D0CB0028 000281F1
	v_add_u32_e32 v241, 64, v241                               // 000000010E88: 69E3E2C0
	s_nop 0                                                    // 000000010E8C: BF800000
	v_cndmask_b32_e64 v121, v66, v121, s[40:41]                // 000000010E90: D1000079 00A2F342
	v_cmp_le_u32_e64 s[40:41], v242, v64                       // 000000010E98: D0CB0028 000281F2
	v_add_u32_e32 v242, 64, v242                               // 000000010EA0: 69E5E4C0
	s_nop 0                                                    // 000000010EA4: BF800000
	v_cndmask_b32_e64 v122, v66, v122, s[40:41]                // 000000010EA8: D100007A 00A2F542
	v_cmp_le_u32_e64 s[40:41], v243, v64                       // 000000010EB0: D0CB0028 000281F3
	v_add_u32_e32 v243, 64, v243                               // 000000010EB8: 69E7E6C0
	s_nop 0                                                    // 000000010EBC: BF800000
	v_cndmask_b32_e64 v123, v66, v123, s[40:41]                // 000000010EC0: D100007B 00A2F742
	v_cmp_le_u32_e64 s[40:41], v240, v64                       // 000000010EC8: D0CB0028 000281F0
	v_add_u32_e32 v240, 64, v240                               // 000000010ED0: 69E1E0C0
	s_nop 0                                                    // 000000010ED4: BF800000
	v_cndmask_b32_e64 v124, v66, v124, s[40:41]                // 000000010ED8: D100007C 00A2F942
	v_cmp_le_u32_e64 s[40:41], v241, v64                       // 000000010EE0: D0CB0028 000281F1
	v_add_u32_e32 v241, 64, v241                               // 000000010EE8: 69E3E2C0
	s_nop 0                                                    // 000000010EEC: BF800000
	v_cndmask_b32_e64 v125, v66, v125, s[40:41]                // 000000010EF0: D100007D 00A2FB42
	v_cmp_le_u32_e64 s[40:41], v242, v64                       // 000000010EF8: D0CB0028 000281F2
	v_add_u32_e32 v242, 64, v242                               // 000000010F00: 69E5E4C0
	s_nop 0                                                    // 000000010F04: BF800000
	v_cndmask_b32_e64 v126, v66, v126, s[40:41]                // 000000010F08: D100007E 00A2FD42
	v_cmp_le_u32_e64 s[40:41], v243, v64                       // 000000010F10: D0CB0028 000281F3
	v_add_u32_e32 v243, 64, v243                               // 000000010F18: 69E7E6C0
	s_nop 0                                                    // 000000010F1C: BF800000
	v_cndmask_b32_e64 v127, v66, v127, s[40:41]                // 000000010F20: D100007F 00A2FF42

0000000000010f28 <label_3B4A>:
	v_mov_b32_e32 v48, v112                                    // 000000010F28: 7E600370
	v_max3_f32 v48, v112, v113, v48                            // 000000010F2C: D1D30030 04C2E370
	v_max3_f32 v48, v114, v115, v48                            // 000000010F34: D1D30030 04C2E772
	v_max3_f32 v48, v116, v117, v48                            // 000000010F3C: D1D30030 04C2EB74
	v_max3_f32 v48, v118, v119, v48                            // 000000010F44: D1D30030 04C2EF76
	v_max3_f32 v48, v120, v121, v48                            // 000000010F4C: D1D30030 04C2F378
	v_max3_f32 v48, v122, v123, v48                            // 000000010F54: D1D30030 04C2F77A
	v_max3_f32 v48, v124, v125, v48                            // 000000010F5C: D1D30030 04C2FB7C
	v_max3_f32 v48, v126, v127, v48                            // 000000010F64: D1D30030 04C2FF7E
	ds_write_b32 v8, v48 offset:16896                          // 000000010F6C: D81A4200 00003008
	buffer_load_dwordx4 a[56:59], v29, s[16:19], 0 offen       // 000000010F74: E05C1000 8084381D
	v_mul_u32_u24_dpp v64, v17, v54 row_newbcast:1 row_mask:0xf bank_mask:0xf// 000000010F7C: 10806CFA FF015111
	v_mul_u32_u24_dpp v65, v17, v54 row_newbcast:5 row_mask:0xf bank_mask:0xf// 000000010F84: 10826CFA FF015511
	v_mul_u32_u24_dpp v66, v17, v54 row_newbcast:9 row_mask:0xf bank_mask:0xf// 000000010F8C: 10846CFA FF015911
	v_mul_u32_u24_dpp v67, v17, v54 row_newbcast:13 row_mask:0xf bank_mask:0xf// 000000010F94: 10866CFA FF015D11
	v_add_u32_e32 v34, v64, v6                                 // 000000010F9C: 68440D40
	v_add_u32_e32 v35, v65, v6                                 // 000000010FA0: 68460D41
	v_add_u32_e32 v36, v66, v6                                 // 000000010FA4: 68480D42
	v_add_u32_e32 v37, v67, v6                                 // 000000010FA8: 684A0D43
	v_mul_f32_e32 v208, v49, v208                              // 000000010FAC: 0BA1A131
	v_mul_f32_e32 v209, v49, v209                              // 000000010FB0: 0BA3A331
	v_mul_f32_e32 v210, v49, v210                              // 000000010FB4: 0BA5A531
	v_mul_f32_e32 v211, v49, v211                              // 000000010FB8: 0BA7A731
	v_mul_f32_e32 v212, v49, v212                              // 000000010FBC: 0BA9A931
	v_mul_f32_e32 v213, v49, v213                              // 000000010FC0: 0BABAB31
	v_mul_f32_e32 v214, v49, v214                              // 000000010FC4: 0BADAD31
	v_mul_f32_e32 v215, v49, v215                              // 000000010FC8: 0BAFAF31
	s_waitcnt lgkmcnt(0)                                       // 000000010FCC: BF8CC07F
	s_barrier                                                  // 000000010FD0: BF8A0000
	ds_read_b32 v64, v7 offset:16896                           // 000000010FD4: D86C4200 40000007
	ds_read_b32 v65, v7 offset:16960                           // 000000010FDC: D86C4240 41000007
	ds_read_b32 v66, v7 offset:17024                           // 000000010FE4: D86C4280 42000007
	ds_read_b32 v67, v7 offset:17088                           // 000000010FEC: D86C42C0 43000007
	ds_read_b32 v68, v7 offset:17152                           // 000000010FF4: D86C4300 44000007
	ds_read_b32 v69, v7 offset:17216                           // 000000010FFC: D86C4340 45000007
	ds_read_b32 v70, v7 offset:17280                           // 000000011004: D86C4380 46000007
	ds_read_b32 v71, v7 offset:17344                           // 00000001100C: D86C43C0 47000007
	ds_read_b32 v72, v7 offset:17408                           // 000000011014: D86C4400 48000007
	ds_read_b32 v73, v7 offset:17472                           // 00000001101C: D86C4440 49000007
	ds_read_b32 v74, v7 offset:17536                           // 000000011024: D86C4480 4A000007
	ds_read_b32 v75, v7 offset:17600                           // 00000001102C: D86C44C0 4B000007
	ds_read_b32 v76, v7 offset:17664                           // 000000011034: D86C4500 4C000007
	ds_read_b32 v77, v7 offset:17728                           // 00000001103C: D86C4540 4D000007
	ds_read_b32 v78, v7 offset:17792                           // 000000011044: D86C4580 4E000007
	ds_read_b32 v79, v7 offset:17856                           // 00000001104C: D86C45C0 4F000007
	buffer_load_dwordx4 a[60:63], v29, s[16:19], 0 offen offset:1024// 000000011054: E05C1400 80843C1D
	v_mul_f32_e32 v176, v44, v176                              // 00000001105C: 0B61612C
	v_mul_f32_e32 v177, v44, v177                              // 000000011060: 0B63632C
	v_mul_f32_e32 v178, v44, v178                              // 000000011064: 0B65652C
	v_mul_f32_e32 v179, v44, v179                              // 000000011068: 0B67672C
	v_mul_f32_e32 v180, v44, v180                              // 00000001106C: 0B69692C
	v_mul_f32_e32 v181, v44, v181                              // 000000011070: 0B6B6B2C
	v_mul_f32_e32 v182, v44, v182                              // 000000011074: 0B6D6D2C
	v_mul_f32_e32 v183, v44, v183                              // 000000011078: 0B6F6F2C
	s_waitcnt lgkmcnt(0)                                       // 00000001107C: BF8CC07F
	v_max3_f32 v48, v64, v65, v48                              // 000000011080: D1D30030 04C28340
	v_max3_f32 v48, v66, v67, v48                              // 000000011088: D1D30030 04C28742
	v_max3_f32 v48, v68, v69, v48                              // 000000011090: D1D30030 04C28B44
	v_max3_f32 v48, v70, v71, v48                              // 000000011098: D1D30030 04C28F46
	v_max3_f32 v48, v72, v73, v48                              // 0000000110A0: D1D30030 04C29348
	v_max3_f32 v48, v74, v75, v48                              // 0000000110A8: D1D30030 04C2974A
	v_max3_f32 v48, v76, v77, v48                              // 0000000110B0: D1D30030 04C29B4C
	v_max3_f32 v48, v78, v79, v48                              // 0000000110B8: D1D30030 04C29F4E
	buffer_load_dwordx4 a[96:99], v34, s[20:23], 0 offen       // 0000000110C0: E05C1000 80856022
	v_mov_b32_e32 v64, 0xff800000                              // 0000000110C8: 7E8002FF FF800000
	v_cmp_eq_u32_e64 s[40:41], v64, v11                        // 0000000110D0: D0CA0028 00021740
	s_nop 1                                                    // 0000000110D8: BF800001
	v_max_f32_e32 v15, v48, v11                                // 0000000110DC: 161E1730
	v_mul_f32_e32 v53, s64, v15                                // 0000000110E0: 0A6A1E40
	v_fma_f32 v112, v112, s64, -v53                            // 0000000110E4: D1CB0070 84D48170
	v_fma_f32 v113, v113, s64, -v53                            // 0000000110EC: D1CB0071 84D48171
	v_fma_f32 v114, v114, s64, -v53                            // 0000000110F4: D1CB0072 84D48172
	v_fma_f32 v115, v115, s64, -v53                            // 0000000110FC: D1CB0073 84D48173
	v_fma_f32 v116, v116, s64, -v53                            // 000000011104: D1CB0074 84D48174
	v_fma_f32 v117, v117, s64, -v53                            // 00000001110C: D1CB0075 84D48175
	v_fma_f32 v118, v118, s64, -v53                            // 000000011114: D1CB0076 84D48176
	v_fma_f32 v119, v119, s64, -v53                            // 00000001111C: D1CB0077 84D48177
	v_fma_f32 v120, v120, s64, -v53                            // 000000011124: D1CB0078 84D48178
	v_fma_f32 v121, v121, s64, -v53                            // 00000001112C: D1CB0079 84D48179
	v_fma_f32 v122, v122, s64, -v53                            // 000000011134: D1CB007A 84D4817A
	v_fma_f32 v123, v123, s64, -v53                            // 00000001113C: D1CB007B 84D4817B
	v_fma_f32 v124, v124, s64, -v53                            // 000000011144: D1CB007C 84D4817C
	v_fma_f32 v125, v125, s64, -v53                            // 00000001114C: D1CB007D 84D4817D
	v_fma_f32 v126, v126, s64, -v53                            // 000000011154: D1CB007E 84D4817E
	v_fma_f32 v127, v127, s64, -v53                            // 00000001115C: D1CB007F 84D4817F
	buffer_load_dwordx4 a[100:103], v35, s[20:23], 0 offen     // 000000011164: E05C1000 80856423
	v_exp_f32_e32 v112, v112                                   // 00000001116C: 7EE04170
	v_exp_f32_e32 v113, v113                                   // 000000011170: 7EE24171
	v_exp_f32_e32 v114, v114                                   // 000000011174: 7EE44172
	v_exp_f32_e32 v115, v115                                   // 000000011178: 7EE64173
	v_exp_f32_e32 v116, v116                                   // 00000001117C: 7EE84174
	v_exp_f32_e32 v117, v117                                   // 000000011180: 7EEA4175
	v_exp_f32_e32 v118, v118                                   // 000000011184: 7EEC4176
	v_exp_f32_e32 v119, v119                                   // 000000011188: 7EEE4177
	v_exp_f32_e32 v120, v120                                   // 00000001118C: 7EF04178
	v_exp_f32_e32 v121, v121                                   // 000000011190: 7EF24179
	v_exp_f32_e32 v122, v122                                   // 000000011194: 7EF4417A
	v_exp_f32_e32 v123, v123                                   // 000000011198: 7EF6417B
	v_exp_f32_e32 v124, v124                                   // 00000001119C: 7EF8417C
	v_exp_f32_e32 v125, v125                                   // 0000000111A0: 7EFA417D
	v_exp_f32_e32 v126, v126                                   // 0000000111A4: 7EFC417E
	v_exp_f32_e32 v127, v127                                   // 0000000111A8: 7EFE417F
	buffer_load_dwordx4 a[104:107], v36, s[20:23], 0 offen     // 0000000111AC: E05C1000 80856824
	v_mul_f32_dpp v240, v252, v112 quad_perm:[0,0,0,0] row_mask:0xf bank_mask:0xf// 0000000111B4: 0BE0E0FA FF0000FC
	v_mul_f32_dpp v241, v252, v113 quad_perm:[1,1,1,1] row_mask:0xf bank_mask:0xf// 0000000111BC: 0BE2E2FA FF0055FC
	v_mul_f32_dpp v242, v252, v114 quad_perm:[2,2,2,2] row_mask:0xf bank_mask:0xf// 0000000111C4: 0BE4E4FA FF00AAFC
	v_mul_f32_dpp v243, v252, v115 quad_perm:[3,3,3,3] row_mask:0xf bank_mask:0xf// 0000000111CC: 0BE6E6FA FF00FFFC
	v_mul_f32_dpp v244, v253, v116 quad_perm:[0,0,0,0] row_mask:0xf bank_mask:0xf// 0000000111D4: 0BE8E8FA FF0000FD
	v_mul_f32_dpp v245, v253, v117 quad_perm:[1,1,1,1] row_mask:0xf bank_mask:0xf// 0000000111DC: 0BEAEAFA FF0055FD
	v_mul_f32_dpp v246, v253, v118 quad_perm:[2,2,2,2] row_mask:0xf bank_mask:0xf// 0000000111E4: 0BECECFA FF00AAFD
	v_mul_f32_dpp v247, v253, v119 quad_perm:[3,3,3,3] row_mask:0xf bank_mask:0xf// 0000000111EC: 0BEEEEFA FF00FFFD
	v_mul_f32_dpp v248, v254, v120 quad_perm:[0,0,0,0] row_mask:0xf bank_mask:0xf// 0000000111F4: 0BF0F0FA FF0000FE
	v_mul_f32_dpp v249, v254, v121 quad_perm:[1,1,1,1] row_mask:0xf bank_mask:0xf// 0000000111FC: 0BF2F2FA FF0055FE
	v_mul_f32_dpp v250, v254, v122 quad_perm:[2,2,2,2] row_mask:0xf bank_mask:0xf// 000000011204: 0BF4F4FA FF00AAFE
	v_mul_f32_dpp v251, v254, v123 quad_perm:[3,3,3,3] row_mask:0xf bank_mask:0xf// 00000001120C: 0BF6F6FA FF00FFFE
	v_mul_f32_dpp v252, v255, v124 quad_perm:[0,0,0,0] row_mask:0xf bank_mask:0xf// 000000011214: 0BF8F8FA FF0000FF
	v_mul_f32_dpp v253, v255, v125 quad_perm:[1,1,1,1] row_mask:0xf bank_mask:0xf// 00000001121C: 0BFAFAFA FF0055FF
	v_mul_f32_dpp v254, v255, v126 quad_perm:[2,2,2,2] row_mask:0xf bank_mask:0xf// 000000011224: 0BFCFCFA FF00AAFF
	v_mul_f32_dpp v255, v255, v127 quad_perm:[3,3,3,3] row_mask:0xf bank_mask:0xf// 00000001122C: 0BFEFEFA FF00FFFF
	v_mov_b32_e32 v48, 0x358637bd                              // 000000011234: 7E6002FF 358637BD
	v_max3_f32 v48, |v240|, |v241|, v48                        // 00000001123C: D1D30330 04C3E3F0
	v_max3_f32 v48, |v242|, |v243|, v48                        // 000000011244: D1D30330 04C3E7F2
	v_max3_f32 v48, |v244|, |v245|, v48                        // 00000001124C: D1D30330 04C3EBF4
	v_max3_f32 v48, |v246|, |v247|, v48                        // 000000011254: D1D30330 04C3EFF6
	v_max3_f32 v48, |v248|, |v249|, v48                        // 00000001125C: D1D30330 04C3F3F8
	v_max3_f32 v48, |v250|, |v251|, v48                        // 000000011264: D1D30330 04C3F7FA
	v_max3_f32 v48, |v252|, |v253|, v48                        // 00000001126C: D1D30330 04C3FBFC
	v_max3_f32 v48, |v254|, |v255|, v48                        // 000000011274: D1D30330 04C3FFFE
	buffer_load_dwordx4 a[108:111], v37, s[20:23], 0 offen     // 00000001127C: E05C1000 80856C25
	ds_write_b32 v8, v48 offset:20992                          // 000000011284: D81A5200 00003008
	v_sub_f32_e32 v49, v11, v15                                // 00000001128C: 04621F0B
	v_cndmask_b32_e64 v49, v49, 0, s[40:41]                    // 000000011290: D1000031 00A10131
	v_mov_b32_e32 v11, v15                                     // 000000011298: 7E16030F
	v_mul_f32_e32 v49, s64, v49                                // 00000001129C: 0A626240
	v_exp_f32_e32 v49, v49                                     // 0000000112A0: 7E624131
	s_waitcnt lgkmcnt(0)                                       // 0000000112A4: BF8CC07F
	s_barrier                                                  // 0000000112A8: BF8A0000
	ds_read_b32 v64, v7 offset:20992                           // 0000000112AC: D86C5200 40000007
	ds_read_b32 v65, v7 offset:21056                           // 0000000112B4: D86C5240 41000007
	ds_read_b32 v66, v7 offset:21120                           // 0000000112BC: D86C5280 42000007
	ds_read_b32 v67, v7 offset:21184                           // 0000000112C4: D86C52C0 43000007
	ds_read_b32 v68, v7 offset:21248                           // 0000000112CC: D86C5300 44000007
	ds_read_b32 v69, v7 offset:21312                           // 0000000112D4: D86C5340 45000007
	ds_read_b32 v70, v7 offset:21376                           // 0000000112DC: D86C5380 46000007
	ds_read_b32 v71, v7 offset:21440                           // 0000000112E4: D86C53C0 47000007
	ds_read_b32 v72, v7 offset:21504                           // 0000000112EC: D86C5400 48000007
	ds_read_b32 v73, v7 offset:21568                           // 0000000112F4: D86C5440 49000007
	ds_read_b32 v74, v7 offset:21632                           // 0000000112FC: D86C5480 4A000007
	ds_read_b32 v75, v7 offset:21696                           // 000000011304: D86C54C0 4B000007
	ds_read_b32 v76, v7 offset:21760                           // 00000001130C: D86C5500 4C000007
	ds_read_b32 v77, v7 offset:21824                           // 000000011314: D86C5540 4D000007
	ds_read_b32 v78, v7 offset:21888                           // 00000001131C: D86C5580 4E000007
	ds_read_b32 v79, v7 offset:21952                           // 000000011324: D86C55C0 4F000007
	v_mul_f32_e32 v38, v49, v38                                // 00000001132C: 0A4C4D31
	v_mov_b32_e32 v15, v112                                    // 000000011330: 7E1E0370
	v_add_f32_e32 v15, v113, v15                               // 000000011334: 021E1F71
	v_add_f32_e32 v15, v114, v15                               // 000000011338: 021E1F72
	v_add_f32_e32 v15, v115, v15                               // 00000001133C: 021E1F73
	v_add_f32_e32 v15, v116, v15                               // 000000011340: 021E1F74
	v_add_f32_e32 v15, v117, v15                               // 000000011344: 021E1F75
	v_add_f32_e32 v15, v118, v15                               // 000000011348: 021E1F76
	v_add_f32_e32 v15, v119, v15                               // 00000001134C: 021E1F77
	v_add_f32_e32 v15, v120, v15                               // 000000011350: 021E1F78
	v_add_f32_e32 v15, v121, v15                               // 000000011354: 021E1F79
	v_add_f32_e32 v15, v122, v15                               // 000000011358: 021E1F7A
	v_add_f32_e32 v15, v123, v15                               // 00000001135C: 021E1F7B
	v_add_f32_e32 v15, v124, v15                               // 000000011360: 021E1F7C
	v_add_f32_e32 v15, v125, v15                               // 000000011364: 021E1F7D
	v_add_f32_e32 v15, v126, v15                               // 000000011368: 021E1F7E
	v_add_f32_e32 v15, v127, v15                               // 00000001136C: 021E1F7F
	v_add_f32_e32 v38, v15, v38                                // 000000011370: 024C4D0F
	s_waitcnt lgkmcnt(0)                                       // 000000011374: BF8CC07F
	v_max3_f32 v48, |v64|, |v65|, v48                          // 000000011378: D1D30330 04C28340
	v_max3_f32 v48, |v66|, |v67|, v48                          // 000000011380: D1D30330 04C28742
	v_max3_f32 v48, |v68|, |v69|, v48                          // 000000011388: D1D30330 04C28B44
	v_max3_f32 v48, |v70|, |v71|, v48                          // 000000011390: D1D30330 04C28F46
	v_max3_f32 v48, |v72|, |v73|, v48                          // 000000011398: D1D30330 04C29348
	v_max3_f32 v48, |v74|, |v75|, v48                          // 0000000113A0: D1D30330 04C2974A
	v_max3_f32 v48, |v76|, |v77|, v48                          // 0000000113A8: D1D30330 04C29B4C
	v_max3_f32 v48, |v78|, |v79|, v48                          // 0000000113B0: D1D30330 04C29F4E
	s_nop 2                                                    // 0000000113B8: BF800002
	v_rcp_f32_e32 v48, v48                                     // 0000000113BC: 7E604530
	s_nop 1                                                    // 0000000113C0: BF800001
	v_mul_f32_e32 v48, 0x43700000, v48                         // 0000000113C4: 0A6060FF 43700000
	v_mul_f32_e32 v112, v48, v240                              // 0000000113CC: 0AE1E130
	v_mul_f32_e32 v113, v48, v241                              // 0000000113D0: 0AE3E330
	v_mul_f32_e32 v114, v48, v242                              // 0000000113D4: 0AE5E530
	v_mul_f32_e32 v115, v48, v243                              // 0000000113D8: 0AE7E730
	v_mul_f32_e32 v116, v48, v244                              // 0000000113DC: 0AE9E930
	v_mul_f32_e32 v117, v48, v245                              // 0000000113E0: 0AEBEB30
	v_mul_f32_e32 v118, v48, v246                              // 0000000113E4: 0AEDED30
	v_mul_f32_e32 v119, v48, v247                              // 0000000113E8: 0AEFEF30
	v_mul_f32_e32 v120, v48, v248                              // 0000000113EC: 0AF1F130
	v_mul_f32_e32 v121, v48, v249                              // 0000000113F0: 0AF3F330
	v_mul_f32_e32 v122, v48, v250                              // 0000000113F4: 0AF5F530
	v_mul_f32_e32 v123, v48, v251                              // 0000000113F8: 0AF7F730
	v_mul_f32_e32 v124, v48, v252                              // 0000000113FC: 0AF9F930
	v_mul_f32_e32 v125, v48, v253                              // 000000011400: 0AFBFB30
	v_mul_f32_e32 v126, v48, v254                              // 000000011404: 0AFDFD30
	v_mul_f32_e32 v127, v48, v255                              // 000000011408: 0AFFFF30
	v_cvt_pk_fp8_f32 v112, v112, v113                          // 00000001140C: D2A20070 0002E370
	v_cvt_pk_fp8_f32 v112, v114, v115 op_sel:[0,0,1]           // 000000011414: D2A24070 0002E772
	v_cvt_pk_fp8_f32 v113, v116, v117                          // 00000001141C: D2A20071 0002EB74
	v_cvt_pk_fp8_f32 v113, v118, v119 op_sel:[0,0,1]           // 000000011424: D2A24071 0002EF76
	v_cvt_pk_fp8_f32 v114, v120, v121                          // 00000001142C: D2A20072 0002F378
	v_cvt_pk_fp8_f32 v114, v122, v123 op_sel:[0,0,1]           // 000000011434: D2A24072 0002F77A
	v_cvt_pk_fp8_f32 v115, v124, v125                          // 00000001143C: D2A20073 0002FB7C
	v_cvt_pk_fp8_f32 v115, v126, v127 op_sel:[0,0,1]           // 000000011444: D2A24073 0002FF7E
	ds_write_b32 v10, v112 offset:25088                        // 00000001144C: D81A6200 0000700A
	ds_write_b32 v10, v113 offset:26112                        // 000000011454: D81A6600 0000710A
	ds_write_b32 v10, v114 offset:27136                        // 00000001145C: D81A6A00 0000720A
	ds_write_b32 v10, v115 offset:28160                        // 000000011464: D81A6E00 0000730A
	v_add_f32_e32 v208, v208, v176                             // 00000001146C: 03A161D0
	v_add_f32_e32 v209, v209, v177                             // 000000011470: 03A363D1
	v_add_f32_e32 v210, v210, v178                             // 000000011474: 03A565D2
	v_add_f32_e32 v211, v211, v179                             // 000000011478: 03A767D3
	v_add_f32_e32 v212, v212, v180                             // 00000001147C: 03A969D4
	v_add_f32_e32 v213, v213, v181                             // 000000011480: 03AB6BD5
	v_add_f32_e32 v214, v214, v182                             // 000000011484: 03AD6DD6
	v_add_f32_e32 v215, v215, v183                             // 000000011488: 03AF6FD7
	v_rcp_f32_e32 v44, v48                                     // 00000001148C: 7E584530
	s_waitcnt lgkmcnt(0)                                       // 000000011490: BF8CC07F
	s_barrier                                                  // 000000011494: BF8A0000
	ds_read_b64 v[112:113], v9 offset:25088                    // 000000011498: D8EC6200 70000009
	ds_read_b64 v[114:115], v9 offset:25216                    // 0000000114A0: D8EC6280 72000009
	ds_read_b64 v[116:117], v9 offset:26112                    // 0000000114A8: D8EC6600 74000009
	ds_read_b64 v[118:119], v9 offset:26240                    // 0000000114B0: D8EC6680 76000009
	ds_read_b64 v[120:121], v9 offset:27136                    // 0000000114B8: D8EC6A00 78000009
	ds_read_b64 v[122:123], v9 offset:27264                    // 0000000114C0: D8EC6A80 7A000009
	ds_read_b64 v[124:125], v9 offset:28160                    // 0000000114C8: D8EC6E00 7C000009
	ds_read_b64 v[126:127], v9 offset:28288                    // 0000000114D0: D8EC6E80 7E000009
	v_mov_b32_dpp v64, v42 row_shr:4 row_mask:0xf bank_mask:0xf// 0000000114D8: 7E8002FA FF01142A
	v_mov_b32_dpp v65, v42 row_shl:4 row_mask:0xf bank_mask:0xf// 0000000114E0: 7E8202FA FF01042A
	v_cndmask_b32_e64 v248, v42, v64, s[44:45]                 // 0000000114E8: D10000F8 00B2812A
	v_cndmask_b32_e64 v249, v65, v42, s[44:45]                 // 0000000114F0: D10000F9 00B25541
	v_mov_b32_dpp v64, v248 row_shr:8 row_mask:0xf bank_mask:0xf// 0000000114F8: 7E8002FA FF0118F8
	v_mov_b32_dpp v65, v248 row_shl:8 row_mask:0xf bank_mask:0xf// 000000011500: 7E8202FA FF0108F8
	v_mov_b32_dpp v66, v249 row_shr:8 row_mask:0xf bank_mask:0xf// 000000011508: 7E8402FA FF0118F9
	v_mov_b32_dpp v67, v249 row_shl:8 row_mask:0xf bank_mask:0xf// 000000011510: 7E8602FA FF0108F9
	v_mov_b32_e32 v68, v248                                    // 000000011518: 7E8803F8
	v_mov_b32_e32 v69, v249                                    // 00000001151C: 7E8A03F9
	v_cndmask_b32_e64 v248, v68, v64, s[42:43]                 // 000000011520: D10000F8 00AA8144
	v_cndmask_b32_e64 v250, v68, v65, s[78:79]                 // 000000011528: D10000FA 013A8344
	v_cndmask_b32_e64 v249, v69, v66, s[42:43]                 // 000000011530: D10000F9 00AA8545
	v_cndmask_b32_e64 v251, v69, v67, s[78:79]                 // 000000011538: D10000FB 013A8745
	v_mov_b32_dpp v64, v57 row_shr:4 row_mask:0xf bank_mask:0xf// 000000011540: 7E8002FA FF011439
	v_mov_b32_dpp v65, v57 row_shl:4 row_mask:0xf bank_mask:0xf// 000000011548: 7E8202FA FF010439
	v_cndmask_b32_e64 v252, v57, v64, s[44:45]                 // 000000011550: D10000FC 00B28139
	v_cndmask_b32_e64 v253, v65, v57, s[44:45]                 // 000000011558: D10000FD 00B27341
	v_mov_b32_dpp v64, v252 row_shr:8 row_mask:0xf bank_mask:0xf// 000000011560: 7E8002FA FF0118FC
	v_mov_b32_dpp v65, v252 row_shl:8 row_mask:0xf bank_mask:0xf// 000000011568: 7E8202FA FF0108FC
	v_mov_b32_dpp v66, v253 row_shr:8 row_mask:0xf bank_mask:0xf// 000000011570: 7E8402FA FF0118FD
	v_mov_b32_dpp v67, v253 row_shl:8 row_mask:0xf bank_mask:0xf// 000000011578: 7E8602FA FF0108FD
	v_mov_b32_e32 v68, v252                                    // 000000011580: 7E8803FC
	v_mov_b32_e32 v69, v253                                    // 000000011584: 7E8A03FD
	v_cndmask_b32_e64 v252, v68, v64, s[42:43]                 // 000000011588: D10000FC 00AA8144
	v_cndmask_b32_e64 v254, v68, v65, s[78:79]                 // 000000011590: D10000FE 013A8344
	v_cndmask_b32_e64 v253, v69, v66, s[42:43]                 // 000000011598: D10000FD 00AA8545
	v_cndmask_b32_e64 v255, v69, v67, s[78:79]                 // 0000000115A0: D10000FF 013A8745
	v_mul_f32_e32 v128, v19, v128                              // 0000000115A8: 0B010113
	v_mul_f32_e32 v129, v19, v129                              // 0000000115AC: 0B030313
	v_mul_f32_e32 v130, v19, v130                              // 0000000115B0: 0B050513
	v_mul_f32_e32 v131, v19, v131                              // 0000000115B4: 0B070713
	v_mul_f32_e32 v132, v19, v132                              // 0000000115B8: 0B090913
	v_mul_f32_e32 v133, v19, v133                              // 0000000115BC: 0B0B0B13
	v_mul_f32_e32 v134, v19, v134                              // 0000000115C0: 0B0D0D13
	v_mul_f32_e32 v135, v19, v135                              // 0000000115C4: 0B0F0F13
	v_mul_f32_e32 v136, v19, v136                              // 0000000115C8: 0B111113
	v_mul_f32_e32 v137, v19, v137                              // 0000000115CC: 0B131313
	v_mul_f32_e32 v138, v19, v138                              // 0000000115D0: 0B151513
	v_mul_f32_e32 v139, v19, v139                              // 0000000115D4: 0B171713
	v_mul_f32_e32 v140, v19, v140                              // 0000000115D8: 0B191913
	v_mul_f32_e32 v141, v19, v141                              // 0000000115DC: 0B1B1B13
	v_mul_f32_e32 v142, v19, v142                              // 0000000115E0: 0B1D1D13
	v_mul_f32_e32 v143, v19, v143                              // 0000000115E4: 0B1F1F13
	v_mul_f32_dpp v128, v248, v128 quad_perm:[0,0,0,0] row_mask:0xf bank_mask:0xf// 0000000115E8: 0B0100FA FF0000F8
	v_mul_f32_dpp v129, v248, v129 quad_perm:[1,1,1,1] row_mask:0xf bank_mask:0xf// 0000000115F0: 0B0302FA FF0055F8
	v_mul_f32_dpp v130, v248, v130 quad_perm:[2,2,2,2] row_mask:0xf bank_mask:0xf// 0000000115F8: 0B0504FA FF00AAF8
	v_mul_f32_dpp v131, v248, v131 quad_perm:[3,3,3,3] row_mask:0xf bank_mask:0xf// 000000011600: 0B0706FA FF00FFF8
	v_mul_f32_dpp v132, v249, v132 quad_perm:[0,0,0,0] row_mask:0xf bank_mask:0xf// 000000011608: 0B0908FA FF0000F9
	v_mul_f32_dpp v133, v249, v133 quad_perm:[1,1,1,1] row_mask:0xf bank_mask:0xf// 000000011610: 0B0B0AFA FF0055F9
	v_mul_f32_dpp v134, v249, v134 quad_perm:[2,2,2,2] row_mask:0xf bank_mask:0xf// 000000011618: 0B0D0CFA FF00AAF9
	v_mul_f32_dpp v135, v249, v135 quad_perm:[3,3,3,3] row_mask:0xf bank_mask:0xf// 000000011620: 0B0F0EFA FF00FFF9
	v_mul_f32_dpp v136, v250, v136 quad_perm:[0,0,0,0] row_mask:0xf bank_mask:0xf// 000000011628: 0B1110FA FF0000FA
	v_mul_f32_dpp v137, v250, v137 quad_perm:[1,1,1,1] row_mask:0xf bank_mask:0xf// 000000011630: 0B1312FA FF0055FA
	v_mul_f32_dpp v138, v250, v138 quad_perm:[2,2,2,2] row_mask:0xf bank_mask:0xf// 000000011638: 0B1514FA FF00AAFA
	v_mul_f32_dpp v139, v250, v139 quad_perm:[3,3,3,3] row_mask:0xf bank_mask:0xf// 000000011640: 0B1716FA FF00FFFA
	v_mul_f32_dpp v140, v251, v140 quad_perm:[0,0,0,0] row_mask:0xf bank_mask:0xf// 000000011648: 0B1918FA FF0000FB
	v_mul_f32_dpp v141, v251, v141 quad_perm:[1,1,1,1] row_mask:0xf bank_mask:0xf// 000000011650: 0B1B1AFA FF0055FB
	v_mul_f32_dpp v142, v251, v142 quad_perm:[2,2,2,2] row_mask:0xf bank_mask:0xf// 000000011658: 0B1D1CFA FF00AAFB
	v_mul_f32_dpp v143, v251, v143 quad_perm:[3,3,3,3] row_mask:0xf bank_mask:0xf// 000000011660: 0B1F1EFA FF00FFFB
	s_cmp_le_i32 s90, s89                                      // 000000011668: BF05595A
	s_cbranch_scc1 label_3D8D                                  // 00000001166C: BF850071
	v_mov_b32_e32 v66, 0xff800000                              // 000000011670: 7E8402FF FF800000
	s_mov_b32 s60, s90                                         // 000000011678: BEBC005A
	s_add_u32 s61, s89, 0xff                                   // 00000001167C: 803DFF59 000000FF
	v_mov_b32_e32 v64, s61                                     // 000000011684: 7E80023D
	v_lshrrev_b32_e32 v240, 4, v0                              // 000000011688: 21E00084
	v_mul_i32_i24_e32 v240, 4, v240                            // 00000001168C: 0DE1E084
	v_add_u32_e32 v240, s60, v240                              // 000000011690: 69E1E03C
	s_mov_b32 s61, 1                                           // 000000011694: BEBD0081
	s_mul_i32 s60, 16, s7                                      // 000000011698: 923C0790
	v_sub_u32_e64 v240, v240, s61                              // 00000001169C: D13500F0 00007BF0
	v_add_u32_e32 v240, s60, v240                              // 0000000116A4: 69E1E03C
	v_add_u32_e32 v241, 1, v240                                // 0000000116A8: 69E3E081
	v_add_u32_e32 v242, 2, v240                                // 0000000116AC: 69E5E082
	v_add_u32_e32 v243, 3, v240                                // 0000000116B0: 69E7E083
	v_cmp_le_u32_e64 s[40:41], v240, v64                       // 0000000116B4: D0CB0028 000281F0
	v_add_u32_e32 v240, 64, v240                               // 0000000116BC: 69E1E0C0
	s_nop 0                                                    // 0000000116C0: BF800000
	v_cndmask_b32_e64 v128, v66, v128, s[40:41]                // 0000000116C4: D1000080 00A30142
	v_cmp_le_u32_e64 s[40:41], v241, v64                       // 0000000116CC: D0CB0028 000281F1
	v_add_u32_e32 v241, 64, v241                               // 0000000116D4: 69E3E2C0
	s_nop 0                                                    // 0000000116D8: BF800000
	v_cndmask_b32_e64 v129, v66, v129, s[40:41]                // 0000000116DC: D1000081 00A30342
	v_cmp_le_u32_e64 s[40:41], v242, v64                       // 0000000116E4: D0CB0028 000281F2
	v_add_u32_e32 v242, 64, v242                               // 0000000116EC: 69E5E4C0
	s_nop 0                                                    // 0000000116F0: BF800000
	v_cndmask_b32_e64 v130, v66, v130, s[40:41]                // 0000000116F4: D1000082 00A30542
	v_cmp_le_u32_e64 s[40:41], v243, v64                       // 0000000116FC: D0CB0028 000281F3
	v_add_u32_e32 v243, 64, v243                               // 000000011704: 69E7E6C0
	s_nop 0                                                    // 000000011708: BF800000
	v_cndmask_b32_e64 v131, v66, v131, s[40:41]                // 00000001170C: D1000083 00A30742
	v_cmp_le_u32_e64 s[40:41], v240, v64                       // 000000011714: D0CB0028 000281F0
	v_add_u32_e32 v240, 64, v240                               // 00000001171C: 69E1E0C0
	s_nop 0                                                    // 000000011720: BF800000
	v_cndmask_b32_e64 v132, v66, v132, s[40:41]                // 000000011724: D1000084 00A30942
	v_cmp_le_u32_e64 s[40:41], v241, v64                       // 00000001172C: D0CB0028 000281F1
	v_add_u32_e32 v241, 64, v241                               // 000000011734: 69E3E2C0
	s_nop 0                                                    // 000000011738: BF800000
	v_cndmask_b32_e64 v133, v66, v133, s[40:41]                // 00000001173C: D1000085 00A30B42
	v_cmp_le_u32_e64 s[40:41], v242, v64                       // 000000011744: D0CB0028 000281F2
	v_add_u32_e32 v242, 64, v242                               // 00000001174C: 69E5E4C0
	s_nop 0                                                    // 000000011750: BF800000
	v_cndmask_b32_e64 v134, v66, v134, s[40:41]                // 000000011754: D1000086 00A30D42
	v_cmp_le_u32_e64 s[40:41], v243, v64                       // 00000001175C: D0CB0028 000281F3
	v_add_u32_e32 v243, 64, v243                               // 000000011764: 69E7E6C0
	s_nop 0                                                    // 000000011768: BF800000
	v_cndmask_b32_e64 v135, v66, v135, s[40:41]                // 00000001176C: D1000087 00A30F42
	v_cmp_le_u32_e64 s[40:41], v240, v64                       // 000000011774: D0CB0028 000281F0
	v_add_u32_e32 v240, 64, v240                               // 00000001177C: 69E1E0C0
	s_nop 0                                                    // 000000011780: BF800000
	v_cndmask_b32_e64 v136, v66, v136, s[40:41]                // 000000011784: D1000088 00A31142
	v_cmp_le_u32_e64 s[40:41], v241, v64                       // 00000001178C: D0CB0028 000281F1
	v_add_u32_e32 v241, 64, v241                               // 000000011794: 69E3E2C0
	s_nop 0                                                    // 000000011798: BF800000
	v_cndmask_b32_e64 v137, v66, v137, s[40:41]                // 00000001179C: D1000089 00A31342
	v_cmp_le_u32_e64 s[40:41], v242, v64                       // 0000000117A4: D0CB0028 000281F2
	v_add_u32_e32 v242, 64, v242                               // 0000000117AC: 69E5E4C0
	s_nop 0                                                    // 0000000117B0: BF800000
	v_cndmask_b32_e64 v138, v66, v138, s[40:41]                // 0000000117B4: D100008A 00A31542
	v_cmp_le_u32_e64 s[40:41], v243, v64                       // 0000000117BC: D0CB0028 000281F3
	v_add_u32_e32 v243, 64, v243                               // 0000000117C4: 69E7E6C0
	s_nop 0                                                    // 0000000117C8: BF800000
	v_cndmask_b32_e64 v139, v66, v139, s[40:41]                // 0000000117CC: D100008B 00A31742
	v_cmp_le_u32_e64 s[40:41], v240, v64                       // 0000000117D4: D0CB0028 000281F0
	v_add_u32_e32 v240, 64, v240                               // 0000000117DC: 69E1E0C0
	s_nop 0                                                    // 0000000117E0: BF800000
	v_cndmask_b32_e64 v140, v66, v140, s[40:41]                // 0000000117E4: D100008C 00A31942
	v_cmp_le_u32_e64 s[40:41], v241, v64                       // 0000000117EC: D0CB0028 000281F1
	v_add_u32_e32 v241, 64, v241                               // 0000000117F4: 69E3E2C0
	s_nop 0                                                    // 0000000117F8: BF800000
	v_cndmask_b32_e64 v141, v66, v141, s[40:41]                // 0000000117FC: D100008D 00A31B42
	v_cmp_le_u32_e64 s[40:41], v242, v64                       // 000000011804: D0CB0028 000281F2
	v_add_u32_e32 v242, 64, v242                               // 00000001180C: 69E5E4C0
	s_nop 0                                                    // 000000011810: BF800000
	v_cndmask_b32_e64 v142, v66, v142, s[40:41]                // 000000011814: D100008E 00A31D42
	v_cmp_le_u32_e64 s[40:41], v243, v64                       // 00000001181C: D0CB0028 000281F3
	v_add_u32_e32 v243, 64, v243                               // 000000011824: 69E7E6C0
	s_nop 0                                                    // 000000011828: BF800000
	v_cndmask_b32_e64 v143, v66, v143, s[40:41]                // 00000001182C: D100008F 00A31F42

0000000000011834 <label_3D8D>:
	v_mov_b32_e32 v48, v128                                    // 000000011834: 7E600380
	v_max3_f32 v48, v128, v129, v48                            // 000000011838: D1D30030 04C30380
	v_max3_f32 v48, v130, v131, v48                            // 000000011840: D1D30030 04C30782
	v_max3_f32 v48, v132, v133, v48                            // 000000011848: D1D30030 04C30B84
	v_max3_f32 v48, v134, v135, v48                            // 000000011850: D1D30030 04C30F86
	v_max3_f32 v48, v136, v137, v48                            // 000000011858: D1D30030 04C31388
	v_max3_f32 v48, v138, v139, v48                            // 000000011860: D1D30030 04C3178A
	v_max3_f32 v48, v140, v141, v48                            // 000000011868: D1D30030 04C31B8C
	v_max3_f32 v48, v142, v143, v48                            // 000000011870: D1D30030 04C31F8E
	ds_write_b32 v8, v48 offset:16896                          // 000000011878: D81A4200 00003008
	v_mul_f32_e32 v216, v50, v216                              // 000000011880: 0BB1B132
	v_mul_f32_e32 v217, v50, v217                              // 000000011884: 0BB3B332
	v_mul_f32_e32 v218, v50, v218                              // 000000011888: 0BB5B532
	v_mul_f32_e32 v219, v50, v219                              // 00000001188C: 0BB7B732
	v_mul_f32_e32 v220, v50, v220                              // 000000011890: 0BB9B932
	v_mul_f32_e32 v221, v50, v221                              // 000000011894: 0BBBBB32
	v_mul_f32_e32 v222, v50, v222                              // 000000011898: 0BBDBD32
	v_mul_f32_e32 v223, v50, v223                              // 00000001189C: 0BBFBF32
	s_waitcnt lgkmcnt(0)                                       // 0000000118A0: BF8CC07F
	s_barrier                                                  // 0000000118A4: BF8A0000
	ds_read_b32 v64, v7 offset:16896                           // 0000000118A8: D86C4200 40000007
	ds_read_b32 v65, v7 offset:16960                           // 0000000118B0: D86C4240 41000007
	ds_read_b32 v66, v7 offset:17024                           // 0000000118B8: D86C4280 42000007
	ds_read_b32 v67, v7 offset:17088                           // 0000000118C0: D86C42C0 43000007
	ds_read_b32 v68, v7 offset:17152                           // 0000000118C8: D86C4300 44000007
	ds_read_b32 v69, v7 offset:17216                           // 0000000118D0: D86C4340 45000007
	ds_read_b32 v70, v7 offset:17280                           // 0000000118D8: D86C4380 46000007
	ds_read_b32 v71, v7 offset:17344                           // 0000000118E0: D86C43C0 47000007
	ds_read_b32 v72, v7 offset:17408                           // 0000000118E8: D86C4400 48000007
	ds_read_b32 v73, v7 offset:17472                           // 0000000118F0: D86C4440 49000007
	ds_read_b32 v74, v7 offset:17536                           // 0000000118F8: D86C4480 4A000007
	ds_read_b32 v75, v7 offset:17600                           // 000000011900: D86C44C0 4B000007
	ds_read_b32 v76, v7 offset:17664                           // 000000011908: D86C4500 4C000007
	ds_read_b32 v77, v7 offset:17728                           // 000000011910: D86C4540 4D000007
	ds_read_b32 v78, v7 offset:17792                           // 000000011918: D86C4580 4E000007
	ds_read_b32 v79, v7 offset:17856                           // 000000011920: D86C45C0 4F000007
	v_mul_f32_e32 v184, v45, v184                              // 000000011928: 0B71712D
	v_mul_f32_e32 v185, v45, v185                              // 00000001192C: 0B73732D
	v_mul_f32_e32 v186, v45, v186                              // 000000011930: 0B75752D
	v_mul_f32_e32 v187, v45, v187                              // 000000011934: 0B77772D
	v_mul_f32_e32 v188, v45, v188                              // 000000011938: 0B79792D
	v_mul_f32_e32 v189, v45, v189                              // 00000001193C: 0B7B7B2D
	v_mul_f32_e32 v190, v45, v190                              // 000000011940: 0B7D7D2D
	v_mul_f32_e32 v191, v45, v191                              // 000000011944: 0B7F7F2D
	s_waitcnt lgkmcnt(0)                                       // 000000011948: BF8CC07F
	v_max3_f32 v48, v64, v65, v48                              // 00000001194C: D1D30030 04C28340
	v_max3_f32 v48, v66, v67, v48                              // 000000011954: D1D30030 04C28742
	v_max3_f32 v48, v68, v69, v48                              // 00000001195C: D1D30030 04C28B44
	v_max3_f32 v48, v70, v71, v48                              // 000000011964: D1D30030 04C28F46
	v_max3_f32 v48, v72, v73, v48                              // 00000001196C: D1D30030 04C29348
	v_max3_f32 v48, v74, v75, v48                              // 000000011974: D1D30030 04C2974A
	v_max3_f32 v48, v76, v77, v48                              // 00000001197C: D1D30030 04C29B4C
	v_max3_f32 v48, v78, v79, v48                              // 000000011984: D1D30030 04C29F4E
	v_mov_b32_e32 v64, 0xff800000                              // 00000001198C: 7E8002FF FF800000
	v_cmp_eq_u32_e64 s[40:41], v64, v12                        // 000000011994: D0CA0028 00021940
	s_nop 1                                                    // 00000001199C: BF800001
	v_max_f32_e32 v15, v48, v12                                // 0000000119A0: 161E1930
	v_mul_f32_e32 v53, s64, v15                                // 0000000119A4: 0A6A1E40
	v_fma_f32 v128, v128, s64, -v53                            // 0000000119A8: D1CB0080 84D48180
	v_fma_f32 v129, v129, s64, -v53                            // 0000000119B0: D1CB0081 84D48181
	v_fma_f32 v130, v130, s64, -v53                            // 0000000119B8: D1CB0082 84D48182
	v_fma_f32 v131, v131, s64, -v53                            // 0000000119C0: D1CB0083 84D48183
	v_fma_f32 v132, v132, s64, -v53                            // 0000000119C8: D1CB0084 84D48184
	v_fma_f32 v133, v133, s64, -v53                            // 0000000119D0: D1CB0085 84D48185
	v_fma_f32 v134, v134, s64, -v53                            // 0000000119D8: D1CB0086 84D48186
	v_fma_f32 v135, v135, s64, -v53                            // 0000000119E0: D1CB0087 84D48187
	v_fma_f32 v136, v136, s64, -v53                            // 0000000119E8: D1CB0088 84D48188
	v_fma_f32 v137, v137, s64, -v53                            // 0000000119F0: D1CB0089 84D48189
	v_fma_f32 v138, v138, s64, -v53                            // 0000000119F8: D1CB008A 84D4818A
	v_fma_f32 v139, v139, s64, -v53                            // 000000011A00: D1CB008B 84D4818B
	v_fma_f32 v140, v140, s64, -v53                            // 000000011A08: D1CB008C 84D4818C
	v_fma_f32 v141, v141, s64, -v53                            // 000000011A10: D1CB008D 84D4818D
	v_fma_f32 v142, v142, s64, -v53                            // 000000011A18: D1CB008E 84D4818E
	v_fma_f32 v143, v143, s64, -v53                            // 000000011A20: D1CB008F 84D4818F
	v_exp_f32_e32 v128, v128                                   // 000000011A28: 7F004180
	v_exp_f32_e32 v129, v129                                   // 000000011A2C: 7F024181
	v_exp_f32_e32 v130, v130                                   // 000000011A30: 7F044182
	v_exp_f32_e32 v131, v131                                   // 000000011A34: 7F064183
	v_exp_f32_e32 v132, v132                                   // 000000011A38: 7F084184
	v_exp_f32_e32 v133, v133                                   // 000000011A3C: 7F0A4185
	v_exp_f32_e32 v134, v134                                   // 000000011A40: 7F0C4186
	v_exp_f32_e32 v135, v135                                   // 000000011A44: 7F0E4187
	v_exp_f32_e32 v136, v136                                   // 000000011A48: 7F104188
	v_exp_f32_e32 v137, v137                                   // 000000011A4C: 7F124189
	v_exp_f32_e32 v138, v138                                   // 000000011A50: 7F14418A
	v_exp_f32_e32 v139, v139                                   // 000000011A54: 7F16418B
	v_exp_f32_e32 v140, v140                                   // 000000011A58: 7F18418C
	v_exp_f32_e32 v141, v141                                   // 000000011A5C: 7F1A418D
	v_exp_f32_e32 v142, v142                                   // 000000011A60: 7F1C418E
	v_exp_f32_e32 v143, v143                                   // 000000011A64: 7F1E418F
	v_mul_f32_dpp v240, v252, v128 quad_perm:[0,0,0,0] row_mask:0xf bank_mask:0xf// 000000011A68: 0BE100FA FF0000FC
	v_mul_f32_dpp v241, v252, v129 quad_perm:[1,1,1,1] row_mask:0xf bank_mask:0xf// 000000011A70: 0BE302FA FF0055FC
	v_mul_f32_dpp v242, v252, v130 quad_perm:[2,2,2,2] row_mask:0xf bank_mask:0xf// 000000011A78: 0BE504FA FF00AAFC
	v_mul_f32_dpp v243, v252, v131 quad_perm:[3,3,3,3] row_mask:0xf bank_mask:0xf// 000000011A80: 0BE706FA FF00FFFC
	v_mul_f32_dpp v244, v253, v132 quad_perm:[0,0,0,0] row_mask:0xf bank_mask:0xf// 000000011A88: 0BE908FA FF0000FD
	v_mul_f32_dpp v245, v253, v133 quad_perm:[1,1,1,1] row_mask:0xf bank_mask:0xf// 000000011A90: 0BEB0AFA FF0055FD
	v_mul_f32_dpp v246, v253, v134 quad_perm:[2,2,2,2] row_mask:0xf bank_mask:0xf// 000000011A98: 0BED0CFA FF00AAFD
	v_mul_f32_dpp v247, v253, v135 quad_perm:[3,3,3,3] row_mask:0xf bank_mask:0xf// 000000011AA0: 0BEF0EFA FF00FFFD
	v_mul_f32_dpp v248, v254, v136 quad_perm:[0,0,0,0] row_mask:0xf bank_mask:0xf// 000000011AA8: 0BF110FA FF0000FE
	v_mul_f32_dpp v249, v254, v137 quad_perm:[1,1,1,1] row_mask:0xf bank_mask:0xf// 000000011AB0: 0BF312FA FF0055FE
	v_mul_f32_dpp v250, v254, v138 quad_perm:[2,2,2,2] row_mask:0xf bank_mask:0xf// 000000011AB8: 0BF514FA FF00AAFE
	v_mul_f32_dpp v251, v254, v139 quad_perm:[3,3,3,3] row_mask:0xf bank_mask:0xf// 000000011AC0: 0BF716FA FF00FFFE
	v_mul_f32_dpp v252, v255, v140 quad_perm:[0,0,0,0] row_mask:0xf bank_mask:0xf// 000000011AC8: 0BF918FA FF0000FF
	v_mul_f32_dpp v253, v255, v141 quad_perm:[1,1,1,1] row_mask:0xf bank_mask:0xf// 000000011AD0: 0BFB1AFA FF0055FF
	v_mul_f32_dpp v254, v255, v142 quad_perm:[2,2,2,2] row_mask:0xf bank_mask:0xf// 000000011AD8: 0BFD1CFA FF00AAFF
	v_mul_f32_dpp v255, v255, v143 quad_perm:[3,3,3,3] row_mask:0xf bank_mask:0xf// 000000011AE0: 0BFF1EFA FF00FFFF
	v_mov_b32_e32 v48, 0x358637bd                              // 000000011AE8: 7E6002FF 358637BD
	v_max3_f32 v48, |v240|, |v241|, v48                        // 000000011AF0: D1D30330 04C3E3F0
	v_max3_f32 v48, |v242|, |v243|, v48                        // 000000011AF8: D1D30330 04C3E7F2
	v_max3_f32 v48, |v244|, |v245|, v48                        // 000000011B00: D1D30330 04C3EBF4
	v_max3_f32 v48, |v246|, |v247|, v48                        // 000000011B08: D1D30330 04C3EFF6
	v_max3_f32 v48, |v248|, |v249|, v48                        // 000000011B10: D1D30330 04C3F3F8
	v_max3_f32 v48, |v250|, |v251|, v48                        // 000000011B18: D1D30330 04C3F7FA
	v_max3_f32 v48, |v252|, |v253|, v48                        // 000000011B20: D1D30330 04C3FBFC
	v_max3_f32 v48, |v254|, |v255|, v48                        // 000000011B28: D1D30330 04C3FFFE
	ds_write_b32 v8, v48 offset:20992                          // 000000011B30: D81A5200 00003008
	v_sub_f32_e32 v50, v12, v15                                // 000000011B38: 04641F0C
	v_cndmask_b32_e64 v50, v50, 0, s[40:41]                    // 000000011B3C: D1000032 00A10132
	v_mov_b32_e32 v12, v15                                     // 000000011B44: 7E18030F
	v_mul_f32_e32 v50, s64, v50                                // 000000011B48: 0A646440
	v_exp_f32_e32 v50, v50                                     // 000000011B4C: 7E644132
	s_waitcnt lgkmcnt(0)                                       // 000000011B50: BF8CC07F
	s_barrier                                                  // 000000011B54: BF8A0000
	ds_read_b32 v64, v7 offset:20992                           // 000000011B58: D86C5200 40000007
	ds_read_b32 v65, v7 offset:21056                           // 000000011B60: D86C5240 41000007
	ds_read_b32 v66, v7 offset:21120                           // 000000011B68: D86C5280 42000007
	ds_read_b32 v67, v7 offset:21184                           // 000000011B70: D86C52C0 43000007
	ds_read_b32 v68, v7 offset:21248                           // 000000011B78: D86C5300 44000007
	ds_read_b32 v69, v7 offset:21312                           // 000000011B80: D86C5340 45000007
	ds_read_b32 v70, v7 offset:21376                           // 000000011B88: D86C5380 46000007
	ds_read_b32 v71, v7 offset:21440                           // 000000011B90: D86C53C0 47000007
	ds_read_b32 v72, v7 offset:21504                           // 000000011B98: D86C5400 48000007
	ds_read_b32 v73, v7 offset:21568                           // 000000011BA0: D86C5440 49000007
	ds_read_b32 v74, v7 offset:21632                           // 000000011BA8: D86C5480 4A000007
	ds_read_b32 v75, v7 offset:21696                           // 000000011BB0: D86C54C0 4B000007
	ds_read_b32 v76, v7 offset:21760                           // 000000011BB8: D86C5500 4C000007
	ds_read_b32 v77, v7 offset:21824                           // 000000011BC0: D86C5540 4D000007
	ds_read_b32 v78, v7 offset:21888                           // 000000011BC8: D86C5580 4E000007
	ds_read_b32 v79, v7 offset:21952                           // 000000011BD0: D86C55C0 4F000007
	v_mul_f32_e32 v39, v50, v39                                // 000000011BD8: 0A4E4F32
	v_mov_b32_e32 v15, v128                                    // 000000011BDC: 7E1E0380
	v_add_f32_e32 v15, v129, v15                               // 000000011BE0: 021E1F81
	v_add_f32_e32 v15, v130, v15                               // 000000011BE4: 021E1F82
	v_add_f32_e32 v15, v131, v15                               // 000000011BE8: 021E1F83
	v_add_f32_e32 v15, v132, v15                               // 000000011BEC: 021E1F84
	v_add_f32_e32 v15, v133, v15                               // 000000011BF0: 021E1F85
	v_add_f32_e32 v15, v134, v15                               // 000000011BF4: 021E1F86
	v_add_f32_e32 v15, v135, v15                               // 000000011BF8: 021E1F87
	v_add_f32_e32 v15, v136, v15                               // 000000011BFC: 021E1F88
	v_add_f32_e32 v15, v137, v15                               // 000000011C00: 021E1F89
	v_add_f32_e32 v15, v138, v15                               // 000000011C04: 021E1F8A
	v_add_f32_e32 v15, v139, v15                               // 000000011C08: 021E1F8B
	v_add_f32_e32 v15, v140, v15                               // 000000011C0C: 021E1F8C
	v_add_f32_e32 v15, v141, v15                               // 000000011C10: 021E1F8D
	v_add_f32_e32 v15, v142, v15                               // 000000011C14: 021E1F8E
	v_add_f32_e32 v15, v143, v15                               // 000000011C18: 021E1F8F
	v_add_f32_e32 v39, v15, v39                                // 000000011C1C: 024E4F0F
	s_waitcnt lgkmcnt(0)                                       // 000000011C20: BF8CC07F
	v_max3_f32 v48, |v64|, |v65|, v48                          // 000000011C24: D1D30330 04C28340
	v_max3_f32 v48, |v66|, |v67|, v48                          // 000000011C2C: D1D30330 04C28742
	v_max3_f32 v48, |v68|, |v69|, v48                          // 000000011C34: D1D30330 04C28B44
	v_max3_f32 v48, |v70|, |v71|, v48                          // 000000011C3C: D1D30330 04C28F46
	v_max3_f32 v48, |v72|, |v73|, v48                          // 000000011C44: D1D30330 04C29348
	v_max3_f32 v48, |v74|, |v75|, v48                          // 000000011C4C: D1D30330 04C2974A
	v_max3_f32 v48, |v76|, |v77|, v48                          // 000000011C54: D1D30330 04C29B4C
	v_max3_f32 v48, |v78|, |v79|, v48                          // 000000011C5C: D1D30330 04C29F4E
	s_nop 2                                                    // 000000011C64: BF800002
	v_rcp_f32_e32 v48, v48                                     // 000000011C68: 7E604530
	s_nop 1                                                    // 000000011C6C: BF800001
	v_mul_f32_e32 v48, 0x43700000, v48                         // 000000011C70: 0A6060FF 43700000
	v_mul_f32_e32 v128, v48, v240                              // 000000011C78: 0B01E130
	v_mul_f32_e32 v129, v48, v241                              // 000000011C7C: 0B03E330
	v_mul_f32_e32 v130, v48, v242                              // 000000011C80: 0B05E530
	v_mul_f32_e32 v131, v48, v243                              // 000000011C84: 0B07E730
	v_mul_f32_e32 v132, v48, v244                              // 000000011C88: 0B09E930
	v_mul_f32_e32 v133, v48, v245                              // 000000011C8C: 0B0BEB30
	v_mul_f32_e32 v134, v48, v246                              // 000000011C90: 0B0DED30
	v_mul_f32_e32 v135, v48, v247                              // 000000011C94: 0B0FEF30
	v_mul_f32_e32 v136, v48, v248                              // 000000011C98: 0B11F130
	v_mul_f32_e32 v137, v48, v249                              // 000000011C9C: 0B13F330
	v_mul_f32_e32 v138, v48, v250                              // 000000011CA0: 0B15F530
	v_mul_f32_e32 v139, v48, v251                              // 000000011CA4: 0B17F730
	v_mul_f32_e32 v140, v48, v252                              // 000000011CA8: 0B19F930
	v_mul_f32_e32 v141, v48, v253                              // 000000011CAC: 0B1BFB30
	v_mul_f32_e32 v142, v48, v254                              // 000000011CB0: 0B1DFD30
	v_mul_f32_e32 v143, v48, v255                              // 000000011CB4: 0B1FFF30
	v_cvt_pk_fp8_f32 v128, v128, v129                          // 000000011CB8: D2A20080 00030380
	v_cvt_pk_fp8_f32 v128, v130, v131 op_sel:[0,0,1]           // 000000011CC0: D2A24080 00030782
	v_cvt_pk_fp8_f32 v129, v132, v133                          // 000000011CC8: D2A20081 00030B84
	v_cvt_pk_fp8_f32 v129, v134, v135 op_sel:[0,0,1]           // 000000011CD0: D2A24081 00030F86
	v_cvt_pk_fp8_f32 v130, v136, v137                          // 000000011CD8: D2A20082 00031388
	v_cvt_pk_fp8_f32 v130, v138, v139 op_sel:[0,0,1]           // 000000011CE0: D2A24082 0003178A
	v_cvt_pk_fp8_f32 v131, v140, v141                          // 000000011CE8: D2A20083 00031B8C
	v_cvt_pk_fp8_f32 v131, v142, v143 op_sel:[0,0,1]           // 000000011CF0: D2A24083 00031F8E
	ds_write_b32 v10, v128 offset:29184                        // 000000011CF8: D81A7200 0000800A
	ds_write_b32 v10, v129 offset:30208                        // 000000011D00: D81A7600 0000810A
	ds_write_b32 v10, v130 offset:31232                        // 000000011D08: D81A7A00 0000820A
	ds_write_b32 v10, v131 offset:32256                        // 000000011D10: D81A7E00 0000830A
	v_add_f32_e32 v216, v216, v184                             // 000000011D18: 03B171D8
	v_add_f32_e32 v217, v217, v185                             // 000000011D1C: 03B373D9
	v_add_f32_e32 v218, v218, v186                             // 000000011D20: 03B575DA
	v_add_f32_e32 v219, v219, v187                             // 000000011D24: 03B777DB
	v_add_f32_e32 v220, v220, v188                             // 000000011D28: 03B979DC
	v_add_f32_e32 v221, v221, v189                             // 000000011D2C: 03BB7BDD
	v_add_f32_e32 v222, v222, v190                             // 000000011D30: 03BD7DDE
	v_add_f32_e32 v223, v223, v191                             // 000000011D34: 03BF7FDF
	v_rcp_f32_e32 v45, v48                                     // 000000011D38: 7E5A4530
	s_waitcnt lgkmcnt(0)                                       // 000000011D3C: BF8CC07F
	s_barrier                                                  // 000000011D40: BF8A0000
	ds_read_b64 v[128:129], v9 offset:29184                    // 000000011D44: D8EC7200 80000009
	ds_read_b64 v[130:131], v9 offset:29312                    // 000000011D4C: D8EC7280 82000009
	ds_read_b64 v[132:133], v9 offset:30208                    // 000000011D54: D8EC7600 84000009
	ds_read_b64 v[134:135], v9 offset:30336                    // 000000011D5C: D8EC7680 86000009
	ds_read_b64 v[136:137], v9 offset:31232                    // 000000011D64: D8EC7A00 88000009
	ds_read_b64 v[138:139], v9 offset:31360                    // 000000011D6C: D8EC7A80 8A000009
	ds_read_b64 v[140:141], v9 offset:32256                    // 000000011D74: D8EC7E00 8C000009
	ds_read_b64 v[142:143], v9 offset:32384                    // 000000011D7C: D8EC7E80 8E000009
	v_mov_b32_dpp v64, v42 row_shr:4 row_mask:0xf bank_mask:0xf// 000000011D84: 7E8002FA FF01142A
	v_mov_b32_dpp v65, v42 row_shl:4 row_mask:0xf bank_mask:0xf// 000000011D8C: 7E8202FA FF01042A
	v_cndmask_b32_e64 v248, v42, v64, s[44:45]                 // 000000011D94: D10000F8 00B2812A
	v_cndmask_b32_e64 v249, v65, v42, s[44:45]                 // 000000011D9C: D10000F9 00B25541
	v_mov_b32_dpp v64, v248 row_shr:8 row_mask:0xf bank_mask:0xf// 000000011DA4: 7E8002FA FF0118F8
	v_mov_b32_dpp v65, v248 row_shl:8 row_mask:0xf bank_mask:0xf// 000000011DAC: 7E8202FA FF0108F8
	v_mov_b32_dpp v66, v249 row_shr:8 row_mask:0xf bank_mask:0xf// 000000011DB4: 7E8402FA FF0118F9
	v_mov_b32_dpp v67, v249 row_shl:8 row_mask:0xf bank_mask:0xf// 000000011DBC: 7E8602FA FF0108F9
	v_mov_b32_e32 v68, v248                                    // 000000011DC4: 7E8803F8
	v_mov_b32_e32 v69, v249                                    // 000000011DC8: 7E8A03F9
	v_cndmask_b32_e64 v248, v68, v64, s[42:43]                 // 000000011DCC: D10000F8 00AA8144
	v_cndmask_b32_e64 v250, v68, v65, s[78:79]                 // 000000011DD4: D10000FA 013A8344
	v_cndmask_b32_e64 v249, v69, v66, s[42:43]                 // 000000011DDC: D10000F9 00AA8545
	v_cndmask_b32_e64 v251, v69, v67, s[78:79]                 // 000000011DE4: D10000FB 013A8745
	v_mov_b32_dpp v64, v57 row_shr:4 row_mask:0xf bank_mask:0xf// 000000011DEC: 7E8002FA FF011439
	v_mov_b32_dpp v65, v57 row_shl:4 row_mask:0xf bank_mask:0xf// 000000011DF4: 7E8202FA FF010439
	v_cndmask_b32_e64 v252, v57, v64, s[44:45]                 // 000000011DFC: D10000FC 00B28139
	v_cndmask_b32_e64 v253, v65, v57, s[44:45]                 // 000000011E04: D10000FD 00B27341
	v_mov_b32_dpp v64, v252 row_shr:8 row_mask:0xf bank_mask:0xf// 000000011E0C: 7E8002FA FF0118FC
	v_mov_b32_dpp v65, v252 row_shl:8 row_mask:0xf bank_mask:0xf// 000000011E14: 7E8202FA FF0108FC
	v_mov_b32_dpp v66, v253 row_shr:8 row_mask:0xf bank_mask:0xf// 000000011E1C: 7E8402FA FF0118FD
	v_mov_b32_dpp v67, v253 row_shl:8 row_mask:0xf bank_mask:0xf// 000000011E24: 7E8602FA FF0108FD
	v_mov_b32_e32 v68, v252                                    // 000000011E2C: 7E8803FC
	v_mov_b32_e32 v69, v253                                    // 000000011E30: 7E8A03FD
	v_cndmask_b32_e64 v252, v68, v64, s[42:43]                 // 000000011E34: D10000FC 00AA8144
	v_cndmask_b32_e64 v254, v68, v65, s[78:79]                 // 000000011E3C: D10000FE 013A8344
	v_cndmask_b32_e64 v253, v69, v66, s[42:43]                 // 000000011E44: D10000FD 00AA8545
	v_cndmask_b32_e64 v255, v69, v67, s[78:79]                 // 000000011E4C: D10000FF 013A8745
	v_mul_f32_e32 v144, v20, v144                              // 000000011E54: 0B212114
	v_mul_f32_e32 v145, v20, v145                              // 000000011E58: 0B232314
	v_mul_f32_e32 v146, v20, v146                              // 000000011E5C: 0B252514
	v_mul_f32_e32 v147, v20, v147                              // 000000011E60: 0B272714
	v_mul_f32_e32 v148, v20, v148                              // 000000011E64: 0B292914
	v_mul_f32_e32 v149, v20, v149                              // 000000011E68: 0B2B2B14
	v_mul_f32_e32 v150, v20, v150                              // 000000011E6C: 0B2D2D14
	v_mul_f32_e32 v151, v20, v151                              // 000000011E70: 0B2F2F14
	v_mul_f32_e32 v152, v20, v152                              // 000000011E74: 0B313114
	v_mul_f32_e32 v153, v20, v153                              // 000000011E78: 0B333314
	v_mul_f32_e32 v154, v20, v154                              // 000000011E7C: 0B353514
	v_mul_f32_e32 v155, v20, v155                              // 000000011E80: 0B373714
	v_mul_f32_e32 v156, v20, v156                              // 000000011E84: 0B393914
	v_mul_f32_e32 v157, v20, v157                              // 000000011E88: 0B3B3B14
	v_mul_f32_e32 v158, v20, v158                              // 000000011E8C: 0B3D3D14
	v_mul_f32_e32 v159, v20, v159                              // 000000011E90: 0B3F3F14
	v_mul_f32_dpp v144, v248, v144 quad_perm:[0,0,0,0] row_mask:0xf bank_mask:0xf// 000000011E94: 0B2120FA FF0000F8
	v_mul_f32_dpp v145, v248, v145 quad_perm:[1,1,1,1] row_mask:0xf bank_mask:0xf// 000000011E9C: 0B2322FA FF0055F8
	v_mul_f32_dpp v146, v248, v146 quad_perm:[2,2,2,2] row_mask:0xf bank_mask:0xf// 000000011EA4: 0B2524FA FF00AAF8
	v_mul_f32_dpp v147, v248, v147 quad_perm:[3,3,3,3] row_mask:0xf bank_mask:0xf// 000000011EAC: 0B2726FA FF00FFF8
	v_mul_f32_dpp v148, v249, v148 quad_perm:[0,0,0,0] row_mask:0xf bank_mask:0xf// 000000011EB4: 0B2928FA FF0000F9
	v_mul_f32_dpp v149, v249, v149 quad_perm:[1,1,1,1] row_mask:0xf bank_mask:0xf// 000000011EBC: 0B2B2AFA FF0055F9
	v_mul_f32_dpp v150, v249, v150 quad_perm:[2,2,2,2] row_mask:0xf bank_mask:0xf// 000000011EC4: 0B2D2CFA FF00AAF9
	v_mul_f32_dpp v151, v249, v151 quad_perm:[3,3,3,3] row_mask:0xf bank_mask:0xf// 000000011ECC: 0B2F2EFA FF00FFF9
	v_mul_f32_dpp v152, v250, v152 quad_perm:[0,0,0,0] row_mask:0xf bank_mask:0xf// 000000011ED4: 0B3130FA FF0000FA
	v_mul_f32_dpp v153, v250, v153 quad_perm:[1,1,1,1] row_mask:0xf bank_mask:0xf// 000000011EDC: 0B3332FA FF0055FA
	v_mul_f32_dpp v154, v250, v154 quad_perm:[2,2,2,2] row_mask:0xf bank_mask:0xf// 000000011EE4: 0B3534FA FF00AAFA
	v_mul_f32_dpp v155, v250, v155 quad_perm:[3,3,3,3] row_mask:0xf bank_mask:0xf// 000000011EEC: 0B3736FA FF00FFFA
	v_mul_f32_dpp v156, v251, v156 quad_perm:[0,0,0,0] row_mask:0xf bank_mask:0xf// 000000011EF4: 0B3938FA FF0000FB
	v_mul_f32_dpp v157, v251, v157 quad_perm:[1,1,1,1] row_mask:0xf bank_mask:0xf// 000000011EFC: 0B3B3AFA FF0055FB
	v_mul_f32_dpp v158, v251, v158 quad_perm:[2,2,2,2] row_mask:0xf bank_mask:0xf// 000000011F04: 0B3D3CFA FF00AAFB
	v_mul_f32_dpp v159, v251, v159 quad_perm:[3,3,3,3] row_mask:0xf bank_mask:0xf// 000000011F0C: 0B3F3EFA FF00FFFB
	s_cmp_le_i32 s90, s89                                      // 000000011F14: BF05595A
	s_cbranch_scc1 label_3FB8                                  // 000000011F18: BF850071
	v_mov_b32_e32 v66, 0xff800000                              // 000000011F1C: 7E8402FF FF800000
	s_mov_b32 s60, s90                                         // 000000011F24: BEBC005A
	s_add_u32 s61, s89, 0xff                                   // 000000011F28: 803DFF59 000000FF
	v_mov_b32_e32 v64, s61                                     // 000000011F30: 7E80023D
	v_lshrrev_b32_e32 v240, 4, v0                              // 000000011F34: 21E00084
	v_mul_i32_i24_e32 v240, 4, v240                            // 000000011F38: 0DE1E084
	v_add_u32_e32 v240, s60, v240                              // 000000011F3C: 69E1E03C
	s_mov_b32 s61, 2                                           // 000000011F40: BEBD0082
	s_mul_i32 s60, 16, s7                                      // 000000011F44: 923C0790
	v_sub_u32_e64 v240, v240, s61                              // 000000011F48: D13500F0 00007BF0
	v_add_u32_e32 v240, s60, v240                              // 000000011F50: 69E1E03C
	v_add_u32_e32 v241, 1, v240                                // 000000011F54: 69E3E081
	v_add_u32_e32 v242, 2, v240                                // 000000011F58: 69E5E082
	v_add_u32_e32 v243, 3, v240                                // 000000011F5C: 69E7E083
	v_cmp_le_u32_e64 s[40:41], v240, v64                       // 000000011F60: D0CB0028 000281F0
	v_add_u32_e32 v240, 64, v240                               // 000000011F68: 69E1E0C0
	s_nop 0                                                    // 000000011F6C: BF800000
	v_cndmask_b32_e64 v144, v66, v144, s[40:41]                // 000000011F70: D1000090 00A32142
	v_cmp_le_u32_e64 s[40:41], v241, v64                       // 000000011F78: D0CB0028 000281F1
	v_add_u32_e32 v241, 64, v241                               // 000000011F80: 69E3E2C0
	s_nop 0                                                    // 000000011F84: BF800000
	v_cndmask_b32_e64 v145, v66, v145, s[40:41]                // 000000011F88: D1000091 00A32342
	v_cmp_le_u32_e64 s[40:41], v242, v64                       // 000000011F90: D0CB0028 000281F2
	v_add_u32_e32 v242, 64, v242                               // 000000011F98: 69E5E4C0
	s_nop 0                                                    // 000000011F9C: BF800000
	v_cndmask_b32_e64 v146, v66, v146, s[40:41]                // 000000011FA0: D1000092 00A32542
	v_cmp_le_u32_e64 s[40:41], v243, v64                       // 000000011FA8: D0CB0028 000281F3
	v_add_u32_e32 v243, 64, v243                               // 000000011FB0: 69E7E6C0
	s_nop 0                                                    // 000000011FB4: BF800000
	v_cndmask_b32_e64 v147, v66, v147, s[40:41]                // 000000011FB8: D1000093 00A32742
	v_cmp_le_u32_e64 s[40:41], v240, v64                       // 000000011FC0: D0CB0028 000281F0
	v_add_u32_e32 v240, 64, v240                               // 000000011FC8: 69E1E0C0
	s_nop 0                                                    // 000000011FCC: BF800000
	v_cndmask_b32_e64 v148, v66, v148, s[40:41]                // 000000011FD0: D1000094 00A32942
	v_cmp_le_u32_e64 s[40:41], v241, v64                       // 000000011FD8: D0CB0028 000281F1
	v_add_u32_e32 v241, 64, v241                               // 000000011FE0: 69E3E2C0
	s_nop 0                                                    // 000000011FE4: BF800000
	v_cndmask_b32_e64 v149, v66, v149, s[40:41]                // 000000011FE8: D1000095 00A32B42
	v_cmp_le_u32_e64 s[40:41], v242, v64                       // 000000011FF0: D0CB0028 000281F2
	v_add_u32_e32 v242, 64, v242                               // 000000011FF8: 69E5E4C0
	s_nop 0                                                    // 000000011FFC: BF800000
	v_cndmask_b32_e64 v150, v66, v150, s[40:41]                // 000000012000: D1000096 00A32D42
	v_cmp_le_u32_e64 s[40:41], v243, v64                       // 000000012008: D0CB0028 000281F3
	v_add_u32_e32 v243, 64, v243                               // 000000012010: 69E7E6C0
	s_nop 0                                                    // 000000012014: BF800000
	v_cndmask_b32_e64 v151, v66, v151, s[40:41]                // 000000012018: D1000097 00A32F42
	v_cmp_le_u32_e64 s[40:41], v240, v64                       // 000000012020: D0CB0028 000281F0
	v_add_u32_e32 v240, 64, v240                               // 000000012028: 69E1E0C0
	s_nop 0                                                    // 00000001202C: BF800000
	v_cndmask_b32_e64 v152, v66, v152, s[40:41]                // 000000012030: D1000098 00A33142
	v_cmp_le_u32_e64 s[40:41], v241, v64                       // 000000012038: D0CB0028 000281F1
	v_add_u32_e32 v241, 64, v241                               // 000000012040: 69E3E2C0
	s_nop 0                                                    // 000000012044: BF800000
	v_cndmask_b32_e64 v153, v66, v153, s[40:41]                // 000000012048: D1000099 00A33342
	v_cmp_le_u32_e64 s[40:41], v242, v64                       // 000000012050: D0CB0028 000281F2
	v_add_u32_e32 v242, 64, v242                               // 000000012058: 69E5E4C0
	s_nop 0                                                    // 00000001205C: BF800000
	v_cndmask_b32_e64 v154, v66, v154, s[40:41]                // 000000012060: D100009A 00A33542
	v_cmp_le_u32_e64 s[40:41], v243, v64                       // 000000012068: D0CB0028 000281F3
	v_add_u32_e32 v243, 64, v243                               // 000000012070: 69E7E6C0
	s_nop 0                                                    // 000000012074: BF800000
	v_cndmask_b32_e64 v155, v66, v155, s[40:41]                // 000000012078: D100009B 00A33742
	v_cmp_le_u32_e64 s[40:41], v240, v64                       // 000000012080: D0CB0028 000281F0
	v_add_u32_e32 v240, 64, v240                               // 000000012088: 69E1E0C0
	s_nop 0                                                    // 00000001208C: BF800000
	v_cndmask_b32_e64 v156, v66, v156, s[40:41]                // 000000012090: D100009C 00A33942
	v_cmp_le_u32_e64 s[40:41], v241, v64                       // 000000012098: D0CB0028 000281F1
	v_add_u32_e32 v241, 64, v241                               // 0000000120A0: 69E3E2C0
	s_nop 0                                                    // 0000000120A4: BF800000
	v_cndmask_b32_e64 v157, v66, v157, s[40:41]                // 0000000120A8: D100009D 00A33B42
	v_cmp_le_u32_e64 s[40:41], v242, v64                       // 0000000120B0: D0CB0028 000281F2
	v_add_u32_e32 v242, 64, v242                               // 0000000120B8: 69E5E4C0
	s_nop 0                                                    // 0000000120BC: BF800000
	v_cndmask_b32_e64 v158, v66, v158, s[40:41]                // 0000000120C0: D100009E 00A33D42
	v_cmp_le_u32_e64 s[40:41], v243, v64                       // 0000000120C8: D0CB0028 000281F3
	v_add_u32_e32 v243, 64, v243                               // 0000000120D0: 69E7E6C0
	s_nop 0                                                    // 0000000120D4: BF800000
	v_cndmask_b32_e64 v159, v66, v159, s[40:41]                // 0000000120D8: D100009F 00A33F42

00000000000120e0 <label_3FB8>:
	s_add_u32 s90, s91, s90                                    // 0000000120E0: 805A5A5B
	v_mov_b32_e32 v48, v144                                    // 0000000120E4: 7E600390
	v_max3_f32 v48, v144, v145, v48                            // 0000000120E8: D1D30030 04C32390
	v_max3_f32 v48, v146, v147, v48                            // 0000000120F0: D1D30030 04C32792
	v_max3_f32 v48, v148, v149, v48                            // 0000000120F8: D1D30030 04C32B94
	v_max3_f32 v48, v150, v151, v48                            // 000000012100: D1D30030 04C32F96
	v_max3_f32 v48, v152, v153, v48                            // 000000012108: D1D30030 04C33398
	v_max3_f32 v48, v154, v155, v48                            // 000000012110: D1D30030 04C3379A
	v_max3_f32 v48, v156, v157, v48                            // 000000012118: D1D30030 04C33B9C
	v_max3_f32 v48, v158, v159, v48                            // 000000012120: D1D30030 04C33F9E
	ds_write_b32 v8, v48 offset:16896                          // 000000012128: D81A4200 00003008
	v_mul_f32_e32 v224, v51, v224                              // 000000012130: 0BC1C133
	v_mul_f32_e32 v225, v51, v225                              // 000000012134: 0BC3C333
	v_mul_f32_e32 v226, v51, v226                              // 000000012138: 0BC5C533
	v_mul_f32_e32 v227, v51, v227                              // 00000001213C: 0BC7C733
	v_mul_f32_e32 v228, v51, v228                              // 000000012140: 0BC9C933
	v_mul_f32_e32 v229, v51, v229                              // 000000012144: 0BCBCB33
	v_mul_f32_e32 v230, v51, v230                              // 000000012148: 0BCDCD33
	v_mul_f32_e32 v231, v51, v231                              // 00000001214C: 0BCFCF33
	s_waitcnt lgkmcnt(0)                                       // 000000012150: BF8CC07F
	s_barrier                                                  // 000000012154: BF8A0000
	ds_read_b32 v64, v7 offset:16896                           // 000000012158: D86C4200 40000007
	ds_read_b32 v65, v7 offset:16960                           // 000000012160: D86C4240 41000007
	ds_read_b32 v66, v7 offset:17024                           // 000000012168: D86C4280 42000007
	ds_read_b32 v67, v7 offset:17088                           // 000000012170: D86C42C0 43000007
	ds_read_b32 v68, v7 offset:17152                           // 000000012178: D86C4300 44000007
	ds_read_b32 v69, v7 offset:17216                           // 000000012180: D86C4340 45000007
	ds_read_b32 v70, v7 offset:17280                           // 000000012188: D86C4380 46000007
	ds_read_b32 v71, v7 offset:17344                           // 000000012190: D86C43C0 47000007
	ds_read_b32 v72, v7 offset:17408                           // 000000012198: D86C4400 48000007
	ds_read_b32 v73, v7 offset:17472                           // 0000000121A0: D86C4440 49000007
	ds_read_b32 v74, v7 offset:17536                           // 0000000121A8: D86C4480 4A000007
	ds_read_b32 v75, v7 offset:17600                           // 0000000121B0: D86C44C0 4B000007
	ds_read_b32 v76, v7 offset:17664                           // 0000000121B8: D86C4500 4C000007
	ds_read_b32 v77, v7 offset:17728                           // 0000000121C0: D86C4540 4D000007
	ds_read_b32 v78, v7 offset:17792                           // 0000000121C8: D86C4580 4E000007
	ds_read_b32 v79, v7 offset:17856                           // 0000000121D0: D86C45C0 4F000007
	v_mul_f32_e32 v192, v46, v192                              // 0000000121D8: 0B81812E
	v_mul_f32_e32 v193, v46, v193                              // 0000000121DC: 0B83832E
	v_mul_f32_e32 v194, v46, v194                              // 0000000121E0: 0B85852E
	v_mul_f32_e32 v195, v46, v195                              // 0000000121E4: 0B87872E
	v_mul_f32_e32 v196, v46, v196                              // 0000000121E8: 0B89892E
	v_mul_f32_e32 v197, v46, v197                              // 0000000121EC: 0B8B8B2E
	v_mul_f32_e32 v198, v46, v198                              // 0000000121F0: 0B8D8D2E
	v_mul_f32_e32 v199, v46, v199                              // 0000000121F4: 0B8F8F2E
	s_waitcnt lgkmcnt(0)                                       // 0000000121F8: BF8CC07F
	v_max3_f32 v48, v64, v65, v48                              // 0000000121FC: D1D30030 04C28340
	v_max3_f32 v48, v66, v67, v48                              // 000000012204: D1D30030 04C28742
	v_max3_f32 v48, v68, v69, v48                              // 00000001220C: D1D30030 04C28B44
	v_max3_f32 v48, v70, v71, v48                              // 000000012214: D1D30030 04C28F46
	v_max3_f32 v48, v72, v73, v48                              // 00000001221C: D1D30030 04C29348
	v_max3_f32 v48, v74, v75, v48                              // 000000012224: D1D30030 04C2974A
	v_max3_f32 v48, v76, v77, v48                              // 00000001222C: D1D30030 04C29B4C
	v_max3_f32 v48, v78, v79, v48                              // 000000012234: D1D30030 04C29F4E
	v_mov_b32_e32 v64, 0xff800000                              // 00000001223C: 7E8002FF FF800000
	v_cmp_eq_u32_e64 s[40:41], v64, v13                        // 000000012244: D0CA0028 00021B40
	s_nop 1                                                    // 00000001224C: BF800001
	v_max_f32_e32 v15, v48, v13                                // 000000012250: 161E1B30
	v_mul_f32_e32 v53, s64, v15                                // 000000012254: 0A6A1E40
	v_fma_f32 v144, v144, s64, -v53                            // 000000012258: D1CB0090 84D48190
	v_fma_f32 v145, v145, s64, -v53                            // 000000012260: D1CB0091 84D48191
	v_fma_f32 v146, v146, s64, -v53                            // 000000012268: D1CB0092 84D48192
	v_fma_f32 v147, v147, s64, -v53                            // 000000012270: D1CB0093 84D48193
	v_fma_f32 v148, v148, s64, -v53                            // 000000012278: D1CB0094 84D48194
	v_fma_f32 v149, v149, s64, -v53                            // 000000012280: D1CB0095 84D48195
	v_fma_f32 v150, v150, s64, -v53                            // 000000012288: D1CB0096 84D48196
	v_fma_f32 v151, v151, s64, -v53                            // 000000012290: D1CB0097 84D48197
	v_fma_f32 v152, v152, s64, -v53                            // 000000012298: D1CB0098 84D48198
	v_fma_f32 v153, v153, s64, -v53                            // 0000000122A0: D1CB0099 84D48199
	v_fma_f32 v154, v154, s64, -v53                            // 0000000122A8: D1CB009A 84D4819A
	v_fma_f32 v155, v155, s64, -v53                            // 0000000122B0: D1CB009B 84D4819B
	v_fma_f32 v156, v156, s64, -v53                            // 0000000122B8: D1CB009C 84D4819C
	v_fma_f32 v157, v157, s64, -v53                            // 0000000122C0: D1CB009D 84D4819D
	v_fma_f32 v158, v158, s64, -v53                            // 0000000122C8: D1CB009E 84D4819E
	v_fma_f32 v159, v159, s64, -v53                            // 0000000122D0: D1CB009F 84D4819F
	v_exp_f32_e32 v144, v144                                   // 0000000122D8: 7F204190
	v_exp_f32_e32 v145, v145                                   // 0000000122DC: 7F224191
	v_exp_f32_e32 v146, v146                                   // 0000000122E0: 7F244192
	v_exp_f32_e32 v147, v147                                   // 0000000122E4: 7F264193
	v_exp_f32_e32 v148, v148                                   // 0000000122E8: 7F284194
	v_exp_f32_e32 v149, v149                                   // 0000000122EC: 7F2A4195
	v_exp_f32_e32 v150, v150                                   // 0000000122F0: 7F2C4196
	v_exp_f32_e32 v151, v151                                   // 0000000122F4: 7F2E4197
	v_exp_f32_e32 v152, v152                                   // 0000000122F8: 7F304198
	v_exp_f32_e32 v153, v153                                   // 0000000122FC: 7F324199
	v_exp_f32_e32 v154, v154                                   // 000000012300: 7F34419A
	v_exp_f32_e32 v155, v155                                   // 000000012304: 7F36419B
	v_exp_f32_e32 v156, v156                                   // 000000012308: 7F38419C
	v_exp_f32_e32 v157, v157                                   // 00000001230C: 7F3A419D
	v_exp_f32_e32 v158, v158                                   // 000000012310: 7F3C419E
	v_exp_f32_e32 v159, v159                                   // 000000012314: 7F3E419F
	v_mul_f32_dpp v240, v252, v144 quad_perm:[0,0,0,0] row_mask:0xf bank_mask:0xf// 000000012318: 0BE120FA FF0000FC
	v_mul_f32_dpp v241, v252, v145 quad_perm:[1,1,1,1] row_mask:0xf bank_mask:0xf// 000000012320: 0BE322FA FF0055FC
	v_mul_f32_dpp v242, v252, v146 quad_perm:[2,2,2,2] row_mask:0xf bank_mask:0xf// 000000012328: 0BE524FA FF00AAFC
	v_mul_f32_dpp v243, v252, v147 quad_perm:[3,3,3,3] row_mask:0xf bank_mask:0xf// 000000012330: 0BE726FA FF00FFFC
	v_mul_f32_dpp v244, v253, v148 quad_perm:[0,0,0,0] row_mask:0xf bank_mask:0xf// 000000012338: 0BE928FA FF0000FD
	v_mul_f32_dpp v245, v253, v149 quad_perm:[1,1,1,1] row_mask:0xf bank_mask:0xf// 000000012340: 0BEB2AFA FF0055FD
	v_mul_f32_dpp v246, v253, v150 quad_perm:[2,2,2,2] row_mask:0xf bank_mask:0xf// 000000012348: 0BED2CFA FF00AAFD
	v_mul_f32_dpp v247, v253, v151 quad_perm:[3,3,3,3] row_mask:0xf bank_mask:0xf// 000000012350: 0BEF2EFA FF00FFFD
	v_mul_f32_dpp v248, v254, v152 quad_perm:[0,0,0,0] row_mask:0xf bank_mask:0xf// 000000012358: 0BF130FA FF0000FE
	v_mul_f32_dpp v249, v254, v153 quad_perm:[1,1,1,1] row_mask:0xf bank_mask:0xf// 000000012360: 0BF332FA FF0055FE
	v_mul_f32_dpp v250, v254, v154 quad_perm:[2,2,2,2] row_mask:0xf bank_mask:0xf// 000000012368: 0BF534FA FF00AAFE
	v_mul_f32_dpp v251, v254, v155 quad_perm:[3,3,3,3] row_mask:0xf bank_mask:0xf// 000000012370: 0BF736FA FF00FFFE
	v_mul_f32_dpp v252, v255, v156 quad_perm:[0,0,0,0] row_mask:0xf bank_mask:0xf// 000000012378: 0BF938FA FF0000FF
	v_mul_f32_dpp v253, v255, v157 quad_perm:[1,1,1,1] row_mask:0xf bank_mask:0xf// 000000012380: 0BFB3AFA FF0055FF
	v_mul_f32_dpp v254, v255, v158 quad_perm:[2,2,2,2] row_mask:0xf bank_mask:0xf// 000000012388: 0BFD3CFA FF00AAFF
	v_mul_f32_dpp v255, v255, v159 quad_perm:[3,3,3,3] row_mask:0xf bank_mask:0xf// 000000012390: 0BFF3EFA FF00FFFF
	v_mov_b32_e32 v48, 0x358637bd                              // 000000012398: 7E6002FF 358637BD
	v_max3_f32 v48, |v240|, |v241|, v48                        // 0000000123A0: D1D30330 04C3E3F0
	v_max3_f32 v48, |v242|, |v243|, v48                        // 0000000123A8: D1D30330 04C3E7F2
	v_max3_f32 v48, |v244|, |v245|, v48                        // 0000000123B0: D1D30330 04C3EBF4
	v_max3_f32 v48, |v246|, |v247|, v48                        // 0000000123B8: D1D30330 04C3EFF6
	v_max3_f32 v48, |v248|, |v249|, v48                        // 0000000123C0: D1D30330 04C3F3F8
	v_max3_f32 v48, |v250|, |v251|, v48                        // 0000000123C8: D1D30330 04C3F7FA
	v_max3_f32 v48, |v252|, |v253|, v48                        // 0000000123D0: D1D30330 04C3FBFC
	v_max3_f32 v48, |v254|, |v255|, v48                        // 0000000123D8: D1D30330 04C3FFFE
	ds_write_b32 v8, v48 offset:20992                          // 0000000123E0: D81A5200 00003008
	v_sub_f32_e32 v51, v13, v15                                // 0000000123E8: 04661F0D
	v_cndmask_b32_e64 v51, v51, 0, s[40:41]                    // 0000000123EC: D1000033 00A10133
	v_mov_b32_e32 v13, v15                                     // 0000000123F4: 7E1A030F
	v_mul_f32_e32 v51, s64, v51                                // 0000000123F8: 0A666640
	v_exp_f32_e32 v51, v51                                     // 0000000123FC: 7E664133
	s_waitcnt lgkmcnt(0)                                       // 000000012400: BF8CC07F
	s_barrier                                                  // 000000012404: BF8A0000
	ds_read_b32 v64, v7 offset:20992                           // 000000012408: D86C5200 40000007
	ds_read_b32 v65, v7 offset:21056                           // 000000012410: D86C5240 41000007
	ds_read_b32 v66, v7 offset:21120                           // 000000012418: D86C5280 42000007
	ds_read_b32 v67, v7 offset:21184                           // 000000012420: D86C52C0 43000007
	ds_read_b32 v68, v7 offset:21248                           // 000000012428: D86C5300 44000007
	ds_read_b32 v69, v7 offset:21312                           // 000000012430: D86C5340 45000007
	ds_read_b32 v70, v7 offset:21376                           // 000000012438: D86C5380 46000007
	ds_read_b32 v71, v7 offset:21440                           // 000000012440: D86C53C0 47000007
	ds_read_b32 v72, v7 offset:21504                           // 000000012448: D86C5400 48000007
	ds_read_b32 v73, v7 offset:21568                           // 000000012450: D86C5440 49000007
	ds_read_b32 v74, v7 offset:21632                           // 000000012458: D86C5480 4A000007
	ds_read_b32 v75, v7 offset:21696                           // 000000012460: D86C54C0 4B000007
	ds_read_b32 v76, v7 offset:21760                           // 000000012468: D86C5500 4C000007
	ds_read_b32 v77, v7 offset:21824                           // 000000012470: D86C5540 4D000007
	ds_read_b32 v78, v7 offset:21888                           // 000000012478: D86C5580 4E000007
	ds_read_b32 v79, v7 offset:21952                           // 000000012480: D86C55C0 4F000007
	v_mul_f32_e32 v40, v51, v40                                // 000000012488: 0A505133
	v_mov_b32_e32 v15, v144                                    // 00000001248C: 7E1E0390
	v_add_f32_e32 v15, v145, v15                               // 000000012490: 021E1F91
	v_add_f32_e32 v15, v146, v15                               // 000000012494: 021E1F92
	v_add_f32_e32 v15, v147, v15                               // 000000012498: 021E1F93
	v_add_f32_e32 v15, v148, v15                               // 00000001249C: 021E1F94
	v_add_f32_e32 v15, v149, v15                               // 0000000124A0: 021E1F95
	v_add_f32_e32 v15, v150, v15                               // 0000000124A4: 021E1F96
	v_add_f32_e32 v15, v151, v15                               // 0000000124A8: 021E1F97
	v_add_f32_e32 v15, v152, v15                               // 0000000124AC: 021E1F98
	v_add_f32_e32 v15, v153, v15                               // 0000000124B0: 021E1F99
	v_add_f32_e32 v15, v154, v15                               // 0000000124B4: 021E1F9A
	v_add_f32_e32 v15, v155, v15                               // 0000000124B8: 021E1F9B
	v_add_f32_e32 v15, v156, v15                               // 0000000124BC: 021E1F9C
	v_add_f32_e32 v15, v157, v15                               // 0000000124C0: 021E1F9D
	v_add_f32_e32 v15, v158, v15                               // 0000000124C4: 021E1F9E
	v_add_f32_e32 v15, v159, v15                               // 0000000124C8: 021E1F9F
	v_add_f32_e32 v40, v15, v40                                // 0000000124CC: 0250510F
	s_waitcnt lgkmcnt(0)                                       // 0000000124D0: BF8CC07F
	v_max3_f32 v48, |v64|, |v65|, v48                          // 0000000124D4: D1D30330 04C28340
	v_max3_f32 v48, |v66|, |v67|, v48                          // 0000000124DC: D1D30330 04C28742
	v_max3_f32 v48, |v68|, |v69|, v48                          // 0000000124E4: D1D30330 04C28B44
	v_max3_f32 v48, |v70|, |v71|, v48                          // 0000000124EC: D1D30330 04C28F46
	v_max3_f32 v48, |v72|, |v73|, v48                          // 0000000124F4: D1D30330 04C29348
	v_max3_f32 v48, |v74|, |v75|, v48                          // 0000000124FC: D1D30330 04C2974A
	v_max3_f32 v48, |v76|, |v77|, v48                          // 000000012504: D1D30330 04C29B4C
	v_max3_f32 v48, |v78|, |v79|, v48                          // 00000001250C: D1D30330 04C29F4E
	s_nop 2                                                    // 000000012514: BF800002
	v_rcp_f32_e32 v48, v48                                     // 000000012518: 7E604530
	s_nop 1                                                    // 00000001251C: BF800001
	v_mul_f32_e32 v48, 0x43700000, v48                         // 000000012520: 0A6060FF 43700000
	v_mul_f32_e32 v144, v48, v240                              // 000000012528: 0B21E130
	v_mul_f32_e32 v145, v48, v241                              // 00000001252C: 0B23E330
	v_mul_f32_e32 v146, v48, v242                              // 000000012530: 0B25E530
	v_mul_f32_e32 v147, v48, v243                              // 000000012534: 0B27E730
	v_mul_f32_e32 v148, v48, v244                              // 000000012538: 0B29E930
	v_mul_f32_e32 v149, v48, v245                              // 00000001253C: 0B2BEB30
	v_mul_f32_e32 v150, v48, v246                              // 000000012540: 0B2DED30
	v_mul_f32_e32 v151, v48, v247                              // 000000012544: 0B2FEF30
	v_mul_f32_e32 v152, v48, v248                              // 000000012548: 0B31F130
	v_mul_f32_e32 v153, v48, v249                              // 00000001254C: 0B33F330
	v_mul_f32_e32 v154, v48, v250                              // 000000012550: 0B35F530
	v_mul_f32_e32 v155, v48, v251                              // 000000012554: 0B37F730
	v_mul_f32_e32 v156, v48, v252                              // 000000012558: 0B39F930
	v_mul_f32_e32 v157, v48, v253                              // 00000001255C: 0B3BFB30
	v_mul_f32_e32 v158, v48, v254                              // 000000012560: 0B3DFD30
	v_mul_f32_e32 v159, v48, v255                              // 000000012564: 0B3FFF30
	v_cvt_pk_fp8_f32 v144, v144, v145                          // 000000012568: D2A20090 00032390
	v_cvt_pk_fp8_f32 v144, v146, v147 op_sel:[0,0,1]           // 000000012570: D2A24090 00032792
	v_cvt_pk_fp8_f32 v145, v148, v149                          // 000000012578: D2A20091 00032B94
	v_cvt_pk_fp8_f32 v145, v150, v151 op_sel:[0,0,1]           // 000000012580: D2A24091 00032F96
	v_cvt_pk_fp8_f32 v146, v152, v153                          // 000000012588: D2A20092 00033398
	v_cvt_pk_fp8_f32 v146, v154, v155 op_sel:[0,0,1]           // 000000012590: D2A24092 0003379A
	v_cvt_pk_fp8_f32 v147, v156, v157                          // 000000012598: D2A20093 00033B9C
	v_cvt_pk_fp8_f32 v147, v158, v159 op_sel:[0,0,1]           // 0000000125A0: D2A24093 00033F9E
	ds_write_b32 v10, v144 offset:33280                        // 0000000125A8: D81A8200 0000900A
	ds_write_b32 v10, v145 offset:34304                        // 0000000125B0: D81A8600 0000910A
	ds_write_b32 v10, v146 offset:35328                        // 0000000125B8: D81A8A00 0000920A
	ds_write_b32 v10, v147 offset:36352                        // 0000000125C0: D81A8E00 0000930A
	v_add_f32_e32 v224, v224, v192                             // 0000000125C8: 03C181E0
	v_add_f32_e32 v225, v225, v193                             // 0000000125CC: 03C383E1
	v_add_f32_e32 v226, v226, v194                             // 0000000125D0: 03C585E2
	v_add_f32_e32 v227, v227, v195                             // 0000000125D4: 03C787E3
	v_add_f32_e32 v228, v228, v196                             // 0000000125D8: 03C989E4
	v_add_f32_e32 v229, v229, v197                             // 0000000125DC: 03CB8BE5
	v_add_f32_e32 v230, v230, v198                             // 0000000125E0: 03CD8DE6
	v_add_f32_e32 v231, v231, v199                             // 0000000125E4: 03CF8FE7
	v_rcp_f32_e32 v46, v48                                     // 0000000125E8: 7E5C4530
	s_waitcnt lgkmcnt(0)                                       // 0000000125EC: BF8CC07F
	s_barrier                                                  // 0000000125F0: BF8A0000
	ds_read_b64 v[144:145], v9 offset:33280                    // 0000000125F4: D8EC8200 90000009
	ds_read_b64 v[146:147], v9 offset:33408                    // 0000000125FC: D8EC8280 92000009
	ds_read_b64 v[148:149], v9 offset:34304                    // 000000012604: D8EC8600 94000009
	ds_read_b64 v[150:151], v9 offset:34432                    // 00000001260C: D8EC8680 96000009
	ds_read_b64 v[152:153], v9 offset:35328                    // 000000012614: D8EC8A00 98000009
	ds_read_b64 v[154:155], v9 offset:35456                    // 00000001261C: D8EC8A80 9A000009
	ds_read_b64 v[156:157], v9 offset:36352                    // 000000012624: D8EC8E00 9C000009
	ds_read_b64 v[158:159], v9 offset:36480                    // 00000001262C: D8EC8E80 9E000009
	s_waitcnt vmcnt(15)                                        // 000000012634: BF8C0F7F
	v_mfma_f32_16x16x32_fp8_fp8 v[176:179], a[64:65], v[112:113], 0// 000000012638: D3F300B0 0A02E140
	v_mfma_f32_16x16x32_fp8_fp8 v[176:179], a[66:67], v[114:115], v[176:179]// 000000012640: D3F300B0 0EC2E542
	buffer_load_dwordx4 a[112:115], v34, s[20:23], 0 offen offset:1024// 000000012648: E05C1400 80857022
	v_mfma_f32_16x16x32_fp8_fp8 v[176:179], a[68:69], v[116:117], v[176:179]// 000000012650: D3F300B0 0EC2E944
	v_mfma_f32_16x16x32_fp8_fp8 v[176:179], a[70:71], v[118:119], v[176:179]// 000000012658: D3F300B0 0EC2ED46
	v_mfma_f32_16x16x32_fp8_fp8 v[176:179], a[72:73], v[120:121], v[176:179]// 000000012660: D3F300B0 0EC2F148
	v_mfma_f32_16x16x32_fp8_fp8 v[176:179], a[74:75], v[122:123], v[176:179]// 000000012668: D3F300B0 0EC2F54A
	buffer_load_dwordx4 a[116:119], v35, s[20:23], 0 offen offset:1024// 000000012670: E05C1400 80857423
	v_mfma_f32_16x16x32_fp8_fp8 v[176:179], a[76:77], v[124:125], v[176:179]// 000000012678: D3F300B0 0EC2F94C
	v_mfma_f32_16x16x32_fp8_fp8 v[176:179], a[78:79], v[126:127], v[176:179]// 000000012680: D3F300B0 0EC2FD4E
	v_mfma_f32_16x16x32_fp8_fp8 v[180:183], a[80:81], v[112:113], 0// 000000012688: D3F300B4 0A02E150
	v_mfma_f32_16x16x32_fp8_fp8 v[180:183], a[82:83], v[114:115], v[180:183]// 000000012690: D3F300B4 0ED2E552
	buffer_load_dwordx4 a[120:123], v36, s[20:23], 0 offen offset:1024// 000000012698: E05C1400 80857824
	v_mfma_f32_16x16x32_fp8_fp8 v[180:183], a[84:85], v[116:117], v[180:183]// 0000000126A0: D3F300B4 0ED2E954
	v_mfma_f32_16x16x32_fp8_fp8 v[180:183], a[86:87], v[118:119], v[180:183]// 0000000126A8: D3F300B4 0ED2ED56
	v_mfma_f32_16x16x32_fp8_fp8 v[180:183], a[88:89], v[120:121], v[180:183]// 0000000126B0: D3F300B4 0ED2F158
	v_mfma_f32_16x16x32_fp8_fp8 v[180:183], a[90:91], v[122:123], v[180:183]// 0000000126B8: D3F300B4 0ED2F55A
	buffer_load_dwordx4 a[124:127], v37, s[20:23], 0 offen offset:1024// 0000000126C0: E05C1400 80857C25
	v_mfma_f32_16x16x32_fp8_fp8 v[180:183], a[92:93], v[124:125], v[180:183]// 0000000126C8: D3F300B4 0ED2F95C
	s_lshr_b32 s57, s70, 4                                     // 0000000126D0: 8F398446
	s_add_u32 s57, 48, s57                                     // 0000000126D4: 803939B0
	v_mfma_f32_16x16x32_fp8_fp8 v[180:183], a[94:95], v[126:127], v[180:183]// 0000000126D8: D3F300B4 0ED2FD5E
	s_cmp_ge_u32 s57, s73                                      // 0000000126E0: BF094939
	s_cselect_b32 s56, 0, s56                                  // 0000000126E4: 85383880
	v_mfma_f32_16x16x32_fp8_fp8 v[184:187], a[64:65], v[128:129], 0// 0000000126E8: D3F300B8 0A030140
	v_mfma_f32_16x16x32_fp8_fp8 v[184:187], a[66:67], v[130:131], v[184:187]// 0000000126F0: D3F300B8 0EE30542
	v_mfma_f32_16x16x32_fp8_fp8 v[184:187], a[68:69], v[132:133], v[184:187]// 0000000126F8: D3F300B8 0EE30944
	v_mfma_f32_16x16x32_fp8_fp8 v[184:187], a[70:71], v[134:135], v[184:187]// 000000012700: D3F300B8 0EE30D46
	v_mfma_f32_16x16x32_fp8_fp8 v[184:187], a[72:73], v[136:137], v[184:187]// 000000012708: D3F300B8 0EE31148
	v_mfma_f32_16x16x32_fp8_fp8 v[184:187], a[74:75], v[138:139], v[184:187]// 000000012710: D3F300B8 0EE3154A
	v_mfma_f32_16x16x32_fp8_fp8 v[184:187], a[76:77], v[140:141], v[184:187]// 000000012718: D3F300B8 0EE3194C
	v_mfma_f32_16x16x32_fp8_fp8 v[184:187], a[78:79], v[142:143], v[184:187]// 000000012720: D3F300B8 0EE31D4E
	v_mfma_f32_16x16x32_fp8_fp8 v[188:191], a[80:81], v[128:129], 0// 000000012728: D3F300BC 0A030150
	v_mfma_f32_16x16x32_fp8_fp8 v[188:191], a[82:83], v[130:131], v[188:191]// 000000012730: D3F300BC 0EF30552
	v_mfma_f32_16x16x32_fp8_fp8 v[188:191], a[84:85], v[132:133], v[188:191]// 000000012738: D3F300BC 0EF30954
	v_mfma_f32_16x16x32_fp8_fp8 v[188:191], a[86:87], v[134:135], v[188:191]// 000000012740: D3F300BC 0EF30D56
	v_mfma_f32_16x16x32_fp8_fp8 v[188:191], a[88:89], v[136:137], v[188:191]// 000000012748: D3F300BC 0EF31158
	v_mfma_f32_16x16x32_fp8_fp8 v[188:191], a[90:91], v[138:139], v[188:191]// 000000012750: D3F300BC 0EF3155A
	v_mfma_f32_16x16x32_fp8_fp8 v[188:191], a[92:93], v[140:141], v[188:191]// 000000012758: D3F300BC 0EF3195C
	v_mfma_f32_16x16x32_fp8_fp8 v[188:191], a[94:95], v[142:143], v[188:191]// 000000012760: D3F300BC 0EF31D5E
	v_mfma_f32_16x16x32_fp8_fp8 v[192:195], a[64:65], v[144:145], 0// 000000012768: D3F300C0 0A032140
	v_mfma_f32_16x16x32_fp8_fp8 v[192:195], a[66:67], v[146:147], v[192:195]// 000000012770: D3F300C0 0F032542
	v_mfma_f32_16x16x32_fp8_fp8 v[192:195], a[68:69], v[148:149], v[192:195]// 000000012778: D3F300C0 0F032944
	v_mfma_f32_16x16x32_fp8_fp8 v[192:195], a[70:71], v[150:151], v[192:195]// 000000012780: D3F300C0 0F032D46
	v_mfma_f32_16x16x32_fp8_fp8 v[192:195], a[72:73], v[152:153], v[192:195]// 000000012788: D3F300C0 0F033148
	v_mfma_f32_16x16x32_fp8_fp8 v[192:195], a[74:75], v[154:155], v[192:195]// 000000012790: D3F300C0 0F03354A
	v_mfma_f32_16x16x32_fp8_fp8 v[192:195], a[76:77], v[156:157], v[192:195]// 000000012798: D3F300C0 0F03394C
	v_mfma_f32_16x16x32_fp8_fp8 v[192:195], a[78:79], v[158:159], v[192:195]// 0000000127A0: D3F300C0 0F033D4E
	v_mfma_f32_16x16x32_fp8_fp8 v[196:199], a[80:81], v[144:145], 0// 0000000127A8: D3F300C4 0A032150
	v_mfma_f32_16x16x32_fp8_fp8 v[196:199], a[82:83], v[146:147], v[196:199]// 0000000127B0: D3F300C4 0F132552
	v_mfma_f32_16x16x32_fp8_fp8 v[196:199], a[84:85], v[148:149], v[196:199]// 0000000127B8: D3F300C4 0F132954
	v_mfma_f32_16x16x32_fp8_fp8 v[196:199], a[86:87], v[150:151], v[196:199]// 0000000127C0: D3F300C4 0F132D56
	v_mfma_f32_16x16x32_fp8_fp8 v[196:199], a[88:89], v[152:153], v[196:199]// 0000000127C8: D3F300C4 0F133158
	v_mfma_f32_16x16x32_fp8_fp8 v[196:199], a[90:91], v[154:155], v[196:199]// 0000000127D0: D3F300C4 0F13355A
	v_mfma_f32_16x16x32_fp8_fp8 v[196:199], a[92:93], v[156:157], v[196:199]// 0000000127D8: D3F300C4 0F13395C
	v_mfma_f32_16x16x32_fp8_fp8 v[196:199], a[94:95], v[158:159], v[196:199]// 0000000127E0: D3F300C4 0F133D5E
	v_add_u32_e32 v1, s56, v1                                  // 0000000127E8: 68020238
	s_addk_i32 s70, 0x100                                      // 0000000127EC: B7460100
	s_cmp_lt_i32 s70, s71                                      // 0000000127F0: BF044746
	s_cbranch_scc0 label_490F                                  // 0000000127F4: BF840791
	s_waitcnt vmcnt(8) lgkmcnt(0)                              // 0000000127F8: BF8C0078
	v_mul_u32_u24_dpp v64, v16, v54 row_newbcast:0 row_mask:0xf bank_mask:0xf// 0000000127FC: 10806CFA FF015010
	v_mul_u32_u24_dpp v65, v16, v54 row_newbcast:4 row_mask:0xf bank_mask:0xf// 000000012804: 10826CFA FF015410
	v_mul_u32_u24_dpp v66, v16, v54 row_newbcast:8 row_mask:0xf bank_mask:0xf// 00000001280C: 10846CFA FF015810
	v_mul_u32_u24_dpp v67, v16, v54 row_newbcast:12 row_mask:0xf bank_mask:0xf// 000000012814: 10866CFA FF015C10
	v_add_u32_e32 v22, v64, v5                                 // 00000001281C: 682C0B40
	v_add_u32_e32 v23, v65, v5                                 // 000000012820: 682E0B41
	v_add_u32_e32 v24, v66, v5                                 // 000000012824: 68300B42
	v_add_u32_e32 v25, v67, v5                                 // 000000012828: 68320B43
	v_mul_u32_u24_dpp v64, v16, v63 quad_perm:[0,0,0,0] row_mask:0xf bank_mask:0xf// 00000001282C: 10807EFA FF000010
	v_add_u32_e32 v2, v64, v59                                 // 000000012834: 68047740
	v_mul_u32_u24_dpp v64, v16, v63 quad_perm:[0,0,0,0] row_mask:0xf bank_mask:0xf// 000000012838: 10807EFA FF000010
	v_add_u32_e32 v55, v64, v60                                // 000000012840: 686E7940
	v_mfma_f32_16x16x32_fp8_fp8 v[112:115], a[32:33], v[80:81], 0// 000000012844: D3F30070 0A02A120
	v_mfma_f32_16x16x32_fp8_fp8 v[112:115], a[34:35], v[82:83], v[112:115]// 00000001284C: D3F30070 0DC2A522
	buffer_load_dwordx4 a[0:3], v22, s[16:19], 0 offen         // 000000012854: E05C1000 80840016
	v_mfma_f32_16x16x32_fp8_fp8 v[112:115], a[36:37], v[84:85], v[112:115]// 00000001285C: D3F30070 0DC2A924
	v_mfma_f32_16x16x32_fp8_fp8 v[112:115], a[38:39], v[86:87], v[112:115]// 000000012864: D3F30070 0DC2AD26
	buffer_load_dword v17, v1, s[24:27], 0 offen               // 00000001286C: E0501000 80061101
	v_mfma_f32_16x16x32_fp8_fp8 v[116:119], a[40:41], v[80:81], 0// 000000012874: D3F30074 0A02A128
	v_mfma_f32_16x16x32_fp8_fp8 v[116:119], a[42:43], v[82:83], v[116:119]// 00000001287C: D3F30074 0DD2A52A
	buffer_load_dwordx4 a[4:7], v22, s[16:19], 0 offen offset:1024// 000000012884: E05C1400 80840416
	v_mfma_f32_16x16x32_fp8_fp8 v[116:119], a[44:45], v[84:85], v[116:119]// 00000001288C: D3F30074 0DD2A92C
	v_mfma_f32_16x16x32_fp8_fp8 v[116:119], a[46:47], v[86:87], v[116:119]// 000000012894: D3F30074 0DD2AD2E
	v_mfma_f32_16x16x32_fp8_fp8 v[120:123], a[48:49], v[80:81], 0// 00000001289C: D3F30078 0A02A130
	v_mfma_f32_16x16x32_fp8_fp8 v[120:123], a[50:51], v[82:83], v[120:123]// 0000000128A4: D3F30078 0DE2A532
	buffer_load_dwordx4 a[8:11], v23, s[16:19], 0 offen        // 0000000128AC: E05C1000 80840817
	v_mfma_f32_16x16x32_fp8_fp8 v[120:123], a[52:53], v[84:85], v[120:123]// 0000000128B4: D3F30078 0DE2A934
	v_mfma_f32_16x16x32_fp8_fp8 v[120:123], a[54:55], v[86:87], v[120:123]// 0000000128BC: D3F30078 0DE2AD36
	v_mfma_f32_16x16x32_fp8_fp8 v[124:127], a[56:57], v[80:81], 0// 0000000128C4: D3F3007C 0A02A138
	v_mfma_f32_16x16x32_fp8_fp8 v[124:127], a[58:59], v[82:83], v[124:127]// 0000000128CC: D3F3007C 0DF2A53A
	buffer_load_dwordx4 a[12:15], v23, s[16:19], 0 offen offset:1024// 0000000128D4: E05C1400 80840C17
	v_mfma_f32_16x16x32_fp8_fp8 v[124:127], a[60:61], v[84:85], v[124:127]// 0000000128DC: D3F3007C 0DF2A93C
	v_mfma_f32_16x16x32_fp8_fp8 v[124:127], a[62:63], v[86:87], v[124:127]// 0000000128E4: D3F3007C 0DF2AD3E
	v_mfma_f32_16x16x32_fp8_fp8 v[128:131], a[32:33], v[88:89], 0// 0000000128EC: D3F30080 0A02B120
	v_mfma_f32_16x16x32_fp8_fp8 v[128:131], a[34:35], v[90:91], v[128:131]// 0000000128F4: D3F30080 0E02B522
	v_mfma_f32_16x16x32_fp8_fp8 v[128:131], a[36:37], v[92:93], v[128:131]// 0000000128FC: D3F30080 0E02B924
	v_mfma_f32_16x16x32_fp8_fp8 v[128:131], a[38:39], v[94:95], v[128:131]// 000000012904: D3F30080 0E02BD26
	v_mfma_f32_16x16x32_fp8_fp8 v[132:135], a[40:41], v[88:89], 0// 00000001290C: D3F30084 0A02B128
	v_mfma_f32_16x16x32_fp8_fp8 v[132:135], a[42:43], v[90:91], v[132:135]// 000000012914: D3F30084 0E12B52A
	v_mfma_f32_16x16x32_fp8_fp8 v[132:135], a[44:45], v[92:93], v[132:135]// 00000001291C: D3F30084 0E12B92C
	v_mfma_f32_16x16x32_fp8_fp8 v[132:135], a[46:47], v[94:95], v[132:135]// 000000012924: D3F30084 0E12BD2E
	v_mfma_f32_16x16x32_fp8_fp8 v[136:139], a[48:49], v[88:89], 0// 00000001292C: D3F30088 0A02B130
	v_mfma_f32_16x16x32_fp8_fp8 v[136:139], a[50:51], v[90:91], v[136:139]// 000000012934: D3F30088 0E22B532
	v_mfma_f32_16x16x32_fp8_fp8 v[136:139], a[52:53], v[92:93], v[136:139]// 00000001293C: D3F30088 0E22B934
	v_mfma_f32_16x16x32_fp8_fp8 v[136:139], a[54:55], v[94:95], v[136:139]// 000000012944: D3F30088 0E22BD36
	v_mfma_f32_16x16x32_fp8_fp8 v[140:143], a[56:57], v[88:89], 0// 00000001294C: D3F3008C 0A02B138
	v_mfma_f32_16x16x32_fp8_fp8 v[140:143], a[58:59], v[90:91], v[140:143]// 000000012954: D3F3008C 0E32B53A
	v_mfma_f32_16x16x32_fp8_fp8 v[140:143], a[60:61], v[92:93], v[140:143]// 00000001295C: D3F3008C 0E32B93C
	v_mfma_f32_16x16x32_fp8_fp8 v[140:143], a[62:63], v[94:95], v[140:143]// 000000012964: D3F3008C 0E32BD3E
	v_mfma_f32_16x16x32_fp8_fp8 v[144:147], a[32:33], v[96:97], 0// 00000001296C: D3F30090 0A02C120
	v_mfma_f32_16x16x32_fp8_fp8 v[144:147], a[34:35], v[98:99], v[144:147]// 000000012974: D3F30090 0E42C522
	v_mfma_f32_16x16x32_fp8_fp8 v[144:147], a[36:37], v[100:101], v[144:147]// 00000001297C: D3F30090 0E42C924
	v_mfma_f32_16x16x32_fp8_fp8 v[144:147], a[38:39], v[102:103], v[144:147]// 000000012984: D3F30090 0E42CD26
	v_mfma_f32_16x16x32_fp8_fp8 v[148:151], a[40:41], v[96:97], 0// 00000001298C: D3F30094 0A02C128
	v_mfma_f32_16x16x32_fp8_fp8 v[148:151], a[42:43], v[98:99], v[148:151]// 000000012994: D3F30094 0E52C52A
	v_mfma_f32_16x16x32_fp8_fp8 v[148:151], a[44:45], v[100:101], v[148:151]// 00000001299C: D3F30094 0E52C92C
	v_mfma_f32_16x16x32_fp8_fp8 v[148:151], a[46:47], v[102:103], v[148:151]// 0000000129A4: D3F30094 0E52CD2E
	v_mfma_f32_16x16x32_fp8_fp8 v[152:155], a[48:49], v[96:97], 0// 0000000129AC: D3F30098 0A02C130
	v_mfma_f32_16x16x32_fp8_fp8 v[152:155], a[50:51], v[98:99], v[152:155]// 0000000129B4: D3F30098 0E62C532
	v_mfma_f32_16x16x32_fp8_fp8 v[152:155], a[52:53], v[100:101], v[152:155]// 0000000129BC: D3F30098 0E62C934
	v_mfma_f32_16x16x32_fp8_fp8 v[152:155], a[54:55], v[102:103], v[152:155]// 0000000129C4: D3F30098 0E62CD36
	v_mfma_f32_16x16x32_fp8_fp8 v[156:159], a[56:57], v[96:97], 0// 0000000129CC: D3F3009C 0A02C138
	v_mfma_f32_16x16x32_fp8_fp8 v[156:159], a[58:59], v[98:99], v[156:159]// 0000000129D4: D3F3009C 0E72C53A
	v_mfma_f32_16x16x32_fp8_fp8 v[156:159], a[60:61], v[100:101], v[156:159]// 0000000129DC: D3F3009C 0E72C93C
	v_mfma_f32_16x16x32_fp8_fp8 v[156:159], a[62:63], v[102:103], v[156:159]// 0000000129E4: D3F3009C 0E72CD3E
	buffer_load_dword v42, v2, s[32:35], 0 offen               // 0000000129EC: E0501000 80082A02
	v_mov_b32_dpp v64, v43 row_shr:4 row_mask:0xf bank_mask:0xf// 0000000129F4: 7E8002FA FF01142B
	v_mov_b32_dpp v65, v43 row_shl:4 row_mask:0xf bank_mask:0xf// 0000000129FC: 7E8202FA FF01042B
	v_cndmask_b32_e64 v248, v43, v64, s[44:45]                 // 000000012A04: D10000F8 00B2812B
	v_cndmask_b32_e64 v249, v65, v43, s[44:45]                 // 000000012A0C: D10000F9 00B25741
	v_mov_b32_dpp v64, v248 row_shr:8 row_mask:0xf bank_mask:0xf// 000000012A14: 7E8002FA FF0118F8
	v_mov_b32_dpp v65, v248 row_shl:8 row_mask:0xf bank_mask:0xf// 000000012A1C: 7E8202FA FF0108F8
	v_mov_b32_dpp v66, v249 row_shr:8 row_mask:0xf bank_mask:0xf// 000000012A24: 7E8402FA FF0118F9
	v_mov_b32_dpp v67, v249 row_shl:8 row_mask:0xf bank_mask:0xf// 000000012A2C: 7E8602FA FF0108F9
	v_mov_b32_e32 v68, v248                                    // 000000012A34: 7E8803F8
	v_mov_b32_e32 v69, v249                                    // 000000012A38: 7E8A03F9
	v_cndmask_b32_e64 v248, v68, v64, s[42:43]                 // 000000012A3C: D10000F8 00AA8144
	v_cndmask_b32_e64 v250, v68, v65, s[78:79]                 // 000000012A44: D10000FA 013A8344
	v_cndmask_b32_e64 v249, v69, v66, s[42:43]                 // 000000012A4C: D10000F9 00AA8545
	v_cndmask_b32_e64 v251, v69, v67, s[78:79]                 // 000000012A54: D10000FB 013A8745
	v_mov_b32_dpp v64, v58 row_shr:4 row_mask:0xf bank_mask:0xf// 000000012A5C: 7E8002FA FF01143A
	v_mov_b32_dpp v65, v58 row_shl:4 row_mask:0xf bank_mask:0xf// 000000012A64: 7E8202FA FF01043A
	v_cndmask_b32_e64 v252, v58, v64, s[44:45]                 // 000000012A6C: D10000FC 00B2813A
	v_cndmask_b32_e64 v253, v65, v58, s[44:45]                 // 000000012A74: D10000FD 00B27541
	v_mov_b32_dpp v64, v252 row_shr:8 row_mask:0xf bank_mask:0xf// 000000012A7C: 7E8002FA FF0118FC
	v_mov_b32_dpp v65, v252 row_shl:8 row_mask:0xf bank_mask:0xf// 000000012A84: 7E8202FA FF0108FC
	v_mov_b32_dpp v66, v253 row_shr:8 row_mask:0xf bank_mask:0xf// 000000012A8C: 7E8402FA FF0118FD
	v_mov_b32_dpp v67, v253 row_shl:8 row_mask:0xf bank_mask:0xf// 000000012A94: 7E8602FA FF0108FD
	v_mov_b32_e32 v68, v252                                    // 000000012A9C: 7E8803FC
	v_mov_b32_e32 v69, v253                                    // 000000012AA0: 7E8A03FD
	v_cndmask_b32_e64 v252, v68, v64, s[42:43]                 // 000000012AA4: D10000FC 00AA8144
	v_cndmask_b32_e64 v254, v68, v65, s[78:79]                 // 000000012AAC: D10000FE 013A8344
	v_cndmask_b32_e64 v253, v69, v66, s[42:43]                 // 000000012AB4: D10000FD 00AA8545
	v_cndmask_b32_e64 v255, v69, v67, s[78:79]                 // 000000012ABC: D10000FF 013A8745
	buffer_load_dword v57, v55, s[36:39], 0 offen              // 000000012AC4: E0501000 80093937
	v_mul_f32_e32 v112, v18, v112                              // 000000012ACC: 0AE0E112
	v_mul_f32_e32 v113, v18, v113                              // 000000012AD0: 0AE2E312
	v_mul_f32_e32 v114, v18, v114                              // 000000012AD4: 0AE4E512
	v_mul_f32_e32 v115, v18, v115                              // 000000012AD8: 0AE6E712
	v_mul_f32_e32 v116, v18, v116                              // 000000012ADC: 0AE8E912
	v_mul_f32_e32 v117, v18, v117                              // 000000012AE0: 0AEAEB12
	v_mul_f32_e32 v118, v18, v118                              // 000000012AE4: 0AECED12
	v_mul_f32_e32 v119, v18, v119                              // 000000012AE8: 0AEEEF12
	v_mul_f32_e32 v120, v18, v120                              // 000000012AEC: 0AF0F112
	v_mul_f32_e32 v121, v18, v121                              // 000000012AF0: 0AF2F312
	v_mul_f32_e32 v122, v18, v122                              // 000000012AF4: 0AF4F512
	v_mul_f32_e32 v123, v18, v123                              // 000000012AF8: 0AF6F712
	v_mul_f32_e32 v124, v18, v124                              // 000000012AFC: 0AF8F912
	v_mul_f32_e32 v125, v18, v125                              // 000000012B00: 0AFAFB12
	v_mul_f32_e32 v126, v18, v126                              // 000000012B04: 0AFCFD12
	v_mul_f32_e32 v127, v18, v127                              // 000000012B08: 0AFEFF12
	buffer_load_dwordx4 a[16:19], v24, s[16:19], 0 offen       // 000000012B0C: E05C1000 80841018
	v_mul_f32_dpp v112, v248, v112 quad_perm:[0,0,0,0] row_mask:0xf bank_mask:0xf// 000000012B14: 0AE0E0FA FF0000F8
	v_mul_f32_dpp v113, v248, v113 quad_perm:[1,1,1,1] row_mask:0xf bank_mask:0xf// 000000012B1C: 0AE2E2FA FF0055F8
	v_mul_f32_dpp v114, v248, v114 quad_perm:[2,2,2,2] row_mask:0xf bank_mask:0xf// 000000012B24: 0AE4E4FA FF00AAF8
	v_mul_f32_dpp v115, v248, v115 quad_perm:[3,3,3,3] row_mask:0xf bank_mask:0xf// 000000012B2C: 0AE6E6FA FF00FFF8
	v_mul_f32_dpp v116, v249, v116 quad_perm:[0,0,0,0] row_mask:0xf bank_mask:0xf// 000000012B34: 0AE8E8FA FF0000F9
	v_mul_f32_dpp v117, v249, v117 quad_perm:[1,1,1,1] row_mask:0xf bank_mask:0xf// 000000012B3C: 0AEAEAFA FF0055F9
	v_mul_f32_dpp v118, v249, v118 quad_perm:[2,2,2,2] row_mask:0xf bank_mask:0xf// 000000012B44: 0AECECFA FF00AAF9
	v_mul_f32_dpp v119, v249, v119 quad_perm:[3,3,3,3] row_mask:0xf bank_mask:0xf// 000000012B4C: 0AEEEEFA FF00FFF9
	v_mul_f32_dpp v120, v250, v120 quad_perm:[0,0,0,0] row_mask:0xf bank_mask:0xf// 000000012B54: 0AF0F0FA FF0000FA
	v_mul_f32_dpp v121, v250, v121 quad_perm:[1,1,1,1] row_mask:0xf bank_mask:0xf// 000000012B5C: 0AF2F2FA FF0055FA
	v_mul_f32_dpp v122, v250, v122 quad_perm:[2,2,2,2] row_mask:0xf bank_mask:0xf// 000000012B64: 0AF4F4FA FF00AAFA
	v_mul_f32_dpp v123, v250, v123 quad_perm:[3,3,3,3] row_mask:0xf bank_mask:0xf// 000000012B6C: 0AF6F6FA FF00FFFA
	v_mul_f32_dpp v124, v251, v124 quad_perm:[0,0,0,0] row_mask:0xf bank_mask:0xf// 000000012B74: 0AF8F8FA FF0000FB
	v_mul_f32_dpp v125, v251, v125 quad_perm:[1,1,1,1] row_mask:0xf bank_mask:0xf// 000000012B7C: 0AFAFAFA FF0055FB
	v_mul_f32_dpp v126, v251, v126 quad_perm:[2,2,2,2] row_mask:0xf bank_mask:0xf// 000000012B84: 0AFCFCFA FF00AAFB
	v_mul_f32_dpp v127, v251, v127 quad_perm:[3,3,3,3] row_mask:0xf bank_mask:0xf// 000000012B8C: 0AFEFEFA FF00FFFB
	buffer_load_dwordx4 a[20:23], v24, s[16:19], 0 offen offset:1024// 000000012B94: E05C1400 80841418
	s_cmp_le_i32 s90, s89                                      // 000000012B9C: BF05595A
	s_cbranch_scc1 label_42DA                                  // 000000012BA0: BF850071
	v_mov_b32_e32 v66, 0xff800000                              // 000000012BA4: 7E8402FF FF800000
	s_mov_b32 s60, s90                                         // 000000012BAC: BEBC005A
	s_add_u32 s61, s89, 0xff                                   // 000000012BB0: 803DFF59 000000FF
	v_mov_b32_e32 v64, s61                                     // 000000012BB8: 7E80023D
	v_lshrrev_b32_e32 v240, 4, v0                              // 000000012BBC: 21E00084
	v_mul_i32_i24_e32 v240, 4, v240                            // 000000012BC0: 0DE1E084
	v_add_u32_e32 v240, s60, v240                              // 000000012BC4: 69E1E03C
	s_mov_b32 s61, 0                                           // 000000012BC8: BEBD0080
	s_mul_i32 s60, 16, s7                                      // 000000012BCC: 923C0790
	v_sub_u32_e64 v240, v240, s61                              // 000000012BD0: D13500F0 00007BF0
	v_add_u32_e32 v240, s60, v240                              // 000000012BD8: 69E1E03C
	v_add_u32_e32 v241, 1, v240                                // 000000012BDC: 69E3E081
	v_add_u32_e32 v242, 2, v240                                // 000000012BE0: 69E5E082
	v_add_u32_e32 v243, 3, v240                                // 000000012BE4: 69E7E083
	v_cmp_le_u32_e64 s[40:41], v240, v64                       // 000000012BE8: D0CB0028 000281F0
	v_add_u32_e32 v240, 64, v240                               // 000000012BF0: 69E1E0C0
	s_nop 0                                                    // 000000012BF4: BF800000
	v_cndmask_b32_e64 v112, v66, v112, s[40:41]                // 000000012BF8: D1000070 00A2E142
	v_cmp_le_u32_e64 s[40:41], v241, v64                       // 000000012C00: D0CB0028 000281F1
	v_add_u32_e32 v241, 64, v241                               // 000000012C08: 69E3E2C0
	s_nop 0                                                    // 000000012C0C: BF800000
	v_cndmask_b32_e64 v113, v66, v113, s[40:41]                // 000000012C10: D1000071 00A2E342
	v_cmp_le_u32_e64 s[40:41], v242, v64                       // 000000012C18: D0CB0028 000281F2
	v_add_u32_e32 v242, 64, v242                               // 000000012C20: 69E5E4C0
	s_nop 0                                                    // 000000012C24: BF800000
	v_cndmask_b32_e64 v114, v66, v114, s[40:41]                // 000000012C28: D1000072 00A2E542
	v_cmp_le_u32_e64 s[40:41], v243, v64                       // 000000012C30: D0CB0028 000281F3
	v_add_u32_e32 v243, 64, v243                               // 000000012C38: 69E7E6C0
	s_nop 0                                                    // 000000012C3C: BF800000
	v_cndmask_b32_e64 v115, v66, v115, s[40:41]                // 000000012C40: D1000073 00A2E742
	v_cmp_le_u32_e64 s[40:41], v240, v64                       // 000000012C48: D0CB0028 000281F0
	v_add_u32_e32 v240, 64, v240                               // 000000012C50: 69E1E0C0
	s_nop 0                                                    // 000000012C54: BF800000
	v_cndmask_b32_e64 v116, v66, v116, s[40:41]                // 000000012C58: D1000074 00A2E942
	v_cmp_le_u32_e64 s[40:41], v241, v64                       // 000000012C60: D0CB0028 000281F1
	v_add_u32_e32 v241, 64, v241                               // 000000012C68: 69E3E2C0
	s_nop 0                                                    // 000000012C6C: BF800000
	v_cndmask_b32_e64 v117, v66, v117, s[40:41]                // 000000012C70: D1000075 00A2EB42
	v_cmp_le_u32_e64 s[40:41], v242, v64                       // 000000012C78: D0CB0028 000281F2
	v_add_u32_e32 v242, 64, v242                               // 000000012C80: 69E5E4C0
	s_nop 0                                                    // 000000012C84: BF800000
	v_cndmask_b32_e64 v118, v66, v118, s[40:41]                // 000000012C88: D1000076 00A2ED42
	v_cmp_le_u32_e64 s[40:41], v243, v64                       // 000000012C90: D0CB0028 000281F3
	v_add_u32_e32 v243, 64, v243                               // 000000012C98: 69E7E6C0
	s_nop 0                                                    // 000000012C9C: BF800000
	v_cndmask_b32_e64 v119, v66, v119, s[40:41]                // 000000012CA0: D1000077 00A2EF42
	v_cmp_le_u32_e64 s[40:41], v240, v64                       // 000000012CA8: D0CB0028 000281F0
	v_add_u32_e32 v240, 64, v240                               // 000000012CB0: 69E1E0C0
	s_nop 0                                                    // 000000012CB4: BF800000
	v_cndmask_b32_e64 v120, v66, v120, s[40:41]                // 000000012CB8: D1000078 00A2F142
	v_cmp_le_u32_e64 s[40:41], v241, v64                       // 000000012CC0: D0CB0028 000281F1
	v_add_u32_e32 v241, 64, v241                               // 000000012CC8: 69E3E2C0
	s_nop 0                                                    // 000000012CCC: BF800000
	v_cndmask_b32_e64 v121, v66, v121, s[40:41]                // 000000012CD0: D1000079 00A2F342
	v_cmp_le_u32_e64 s[40:41], v242, v64                       // 000000012CD8: D0CB0028 000281F2
	v_add_u32_e32 v242, 64, v242                               // 000000012CE0: 69E5E4C0
	s_nop 0                                                    // 000000012CE4: BF800000
	v_cndmask_b32_e64 v122, v66, v122, s[40:41]                // 000000012CE8: D100007A 00A2F542
	v_cmp_le_u32_e64 s[40:41], v243, v64                       // 000000012CF0: D0CB0028 000281F3
	v_add_u32_e32 v243, 64, v243                               // 000000012CF8: 69E7E6C0
	s_nop 0                                                    // 000000012CFC: BF800000
	v_cndmask_b32_e64 v123, v66, v123, s[40:41]                // 000000012D00: D100007B 00A2F742
	v_cmp_le_u32_e64 s[40:41], v240, v64                       // 000000012D08: D0CB0028 000281F0
	v_add_u32_e32 v240, 64, v240                               // 000000012D10: 69E1E0C0
	s_nop 0                                                    // 000000012D14: BF800000
	v_cndmask_b32_e64 v124, v66, v124, s[40:41]                // 000000012D18: D100007C 00A2F942
	v_cmp_le_u32_e64 s[40:41], v241, v64                       // 000000012D20: D0CB0028 000281F1
	v_add_u32_e32 v241, 64, v241                               // 000000012D28: 69E3E2C0
	s_nop 0                                                    // 000000012D2C: BF800000
	v_cndmask_b32_e64 v125, v66, v125, s[40:41]                // 000000012D30: D100007D 00A2FB42
	v_cmp_le_u32_e64 s[40:41], v242, v64                       // 000000012D38: D0CB0028 000281F2
	v_add_u32_e32 v242, 64, v242                               // 000000012D40: 69E5E4C0
	s_nop 0                                                    // 000000012D44: BF800000
	v_cndmask_b32_e64 v126, v66, v126, s[40:41]                // 000000012D48: D100007E 00A2FD42
	v_cmp_le_u32_e64 s[40:41], v243, v64                       // 000000012D50: D0CB0028 000281F3
	v_add_u32_e32 v243, 64, v243                               // 000000012D58: 69E7E6C0
	s_nop 0                                                    // 000000012D5C: BF800000
	v_cndmask_b32_e64 v127, v66, v127, s[40:41]                // 000000012D60: D100007F 00A2FF42

0000000000012d68 <label_42DA>:
	v_mov_b32_e32 v48, v112                                    // 000000012D68: 7E600370
	v_max3_f32 v48, v112, v113, v48                            // 000000012D6C: D1D30030 04C2E370
	v_max3_f32 v48, v114, v115, v48                            // 000000012D74: D1D30030 04C2E772
	v_max3_f32 v48, v116, v117, v48                            // 000000012D7C: D1D30030 04C2EB74
	v_max3_f32 v48, v118, v119, v48                            // 000000012D84: D1D30030 04C2EF76
	v_max3_f32 v48, v120, v121, v48                            // 000000012D8C: D1D30030 04C2F378
	v_max3_f32 v48, v122, v123, v48                            // 000000012D94: D1D30030 04C2F77A
	v_max3_f32 v48, v124, v125, v48                            // 000000012D9C: D1D30030 04C2FB7C
	v_max3_f32 v48, v126, v127, v48                            // 000000012DA4: D1D30030 04C2FF7E
	ds_write_b32 v8, v48 offset:16896                          // 000000012DAC: D81A4200 00003008
	buffer_load_dwordx4 a[24:27], v25, s[16:19], 0 offen       // 000000012DB4: E05C1000 80841819
	v_mul_u32_u24_dpp v64, v16, v54 row_newbcast:1 row_mask:0xf bank_mask:0xf// 000000012DBC: 10806CFA FF015110
	v_mul_u32_u24_dpp v65, v16, v54 row_newbcast:5 row_mask:0xf bank_mask:0xf// 000000012DC4: 10826CFA FF015510
	v_mul_u32_u24_dpp v66, v16, v54 row_newbcast:9 row_mask:0xf bank_mask:0xf// 000000012DCC: 10846CFA FF015910
	v_mul_u32_u24_dpp v67, v16, v54 row_newbcast:13 row_mask:0xf bank_mask:0xf// 000000012DD4: 10866CFA FF015D10
	v_add_u32_e32 v30, v64, v6                                 // 000000012DDC: 683C0D40
	v_add_u32_e32 v31, v65, v6                                 // 000000012DE0: 683E0D41
	v_add_u32_e32 v32, v66, v6                                 // 000000012DE4: 68400D42
	v_add_u32_e32 v33, v67, v6                                 // 000000012DE8: 68420D43
	v_mul_f32_e32 v208, v49, v208                              // 000000012DEC: 0BA1A131
	v_mul_f32_e32 v209, v49, v209                              // 000000012DF0: 0BA3A331
	v_mul_f32_e32 v210, v49, v210                              // 000000012DF4: 0BA5A531
	v_mul_f32_e32 v211, v49, v211                              // 000000012DF8: 0BA7A731
	v_mul_f32_e32 v212, v49, v212                              // 000000012DFC: 0BA9A931
	v_mul_f32_e32 v213, v49, v213                              // 000000012E00: 0BABAB31
	v_mul_f32_e32 v214, v49, v214                              // 000000012E04: 0BADAD31
	v_mul_f32_e32 v215, v49, v215                              // 000000012E08: 0BAFAF31
	s_waitcnt lgkmcnt(0)                                       // 000000012E0C: BF8CC07F
	s_barrier                                                  // 000000012E10: BF8A0000
	ds_read_b32 v64, v7 offset:16896                           // 000000012E14: D86C4200 40000007
	ds_read_b32 v65, v7 offset:16960                           // 000000012E1C: D86C4240 41000007
	ds_read_b32 v66, v7 offset:17024                           // 000000012E24: D86C4280 42000007
	ds_read_b32 v67, v7 offset:17088                           // 000000012E2C: D86C42C0 43000007
	ds_read_b32 v68, v7 offset:17152                           // 000000012E34: D86C4300 44000007
	ds_read_b32 v69, v7 offset:17216                           // 000000012E3C: D86C4340 45000007
	ds_read_b32 v70, v7 offset:17280                           // 000000012E44: D86C4380 46000007
	ds_read_b32 v71, v7 offset:17344                           // 000000012E4C: D86C43C0 47000007
	ds_read_b32 v72, v7 offset:17408                           // 000000012E54: D86C4400 48000007
	ds_read_b32 v73, v7 offset:17472                           // 000000012E5C: D86C4440 49000007
	ds_read_b32 v74, v7 offset:17536                           // 000000012E64: D86C4480 4A000007
	ds_read_b32 v75, v7 offset:17600                           // 000000012E6C: D86C44C0 4B000007
	ds_read_b32 v76, v7 offset:17664                           // 000000012E74: D86C4500 4C000007
	ds_read_b32 v77, v7 offset:17728                           // 000000012E7C: D86C4540 4D000007
	ds_read_b32 v78, v7 offset:17792                           // 000000012E84: D86C4580 4E000007
	ds_read_b32 v79, v7 offset:17856                           // 000000012E8C: D86C45C0 4F000007
	buffer_load_dwordx4 a[28:31], v25, s[16:19], 0 offen offset:1024// 000000012E94: E05C1400 80841C19
	v_mul_f32_e32 v176, v44, v176                              // 000000012E9C: 0B61612C
	v_mul_f32_e32 v177, v44, v177                              // 000000012EA0: 0B63632C
	v_mul_f32_e32 v178, v44, v178                              // 000000012EA4: 0B65652C
	v_mul_f32_e32 v179, v44, v179                              // 000000012EA8: 0B67672C
	v_mul_f32_e32 v180, v44, v180                              // 000000012EAC: 0B69692C
	v_mul_f32_e32 v181, v44, v181                              // 000000012EB0: 0B6B6B2C
	v_mul_f32_e32 v182, v44, v182                              // 000000012EB4: 0B6D6D2C
	v_mul_f32_e32 v183, v44, v183                              // 000000012EB8: 0B6F6F2C
	s_waitcnt lgkmcnt(0)                                       // 000000012EBC: BF8CC07F
	v_max3_f32 v48, v64, v65, v48                              // 000000012EC0: D1D30030 04C28340
	v_max3_f32 v48, v66, v67, v48                              // 000000012EC8: D1D30030 04C28742
	v_max3_f32 v48, v68, v69, v48                              // 000000012ED0: D1D30030 04C28B44
	v_max3_f32 v48, v70, v71, v48                              // 000000012ED8: D1D30030 04C28F46
	v_max3_f32 v48, v72, v73, v48                              // 000000012EE0: D1D30030 04C29348
	v_max3_f32 v48, v74, v75, v48                              // 000000012EE8: D1D30030 04C2974A
	v_max3_f32 v48, v76, v77, v48                              // 000000012EF0: D1D30030 04C29B4C
	v_max3_f32 v48, v78, v79, v48                              // 000000012EF8: D1D30030 04C29F4E
	buffer_load_dwordx4 a[64:67], v30, s[20:23], 0 offen       // 000000012F00: E05C1000 8085401E
	v_mov_b32_e32 v64, 0xff800000                              // 000000012F08: 7E8002FF FF800000
	v_cmp_eq_u32_e64 s[40:41], v64, v11                        // 000000012F10: D0CA0028 00021740
	s_nop 1                                                    // 000000012F18: BF800001
	v_max_f32_e32 v15, v48, v11                                // 000000012F1C: 161E1730
	v_mul_f32_e32 v53, s64, v15                                // 000000012F20: 0A6A1E40
	v_fma_f32 v112, v112, s64, -v53                            // 000000012F24: D1CB0070 84D48170
	v_fma_f32 v113, v113, s64, -v53                            // 000000012F2C: D1CB0071 84D48171
	v_fma_f32 v114, v114, s64, -v53                            // 000000012F34: D1CB0072 84D48172
	v_fma_f32 v115, v115, s64, -v53                            // 000000012F3C: D1CB0073 84D48173
	v_fma_f32 v116, v116, s64, -v53                            // 000000012F44: D1CB0074 84D48174
	v_fma_f32 v117, v117, s64, -v53                            // 000000012F4C: D1CB0075 84D48175
	v_fma_f32 v118, v118, s64, -v53                            // 000000012F54: D1CB0076 84D48176
	v_fma_f32 v119, v119, s64, -v53                            // 000000012F5C: D1CB0077 84D48177
	v_fma_f32 v120, v120, s64, -v53                            // 000000012F64: D1CB0078 84D48178
	v_fma_f32 v121, v121, s64, -v53                            // 000000012F6C: D1CB0079 84D48179
	v_fma_f32 v122, v122, s64, -v53                            // 000000012F74: D1CB007A 84D4817A
	v_fma_f32 v123, v123, s64, -v53                            // 000000012F7C: D1CB007B 84D4817B
	v_fma_f32 v124, v124, s64, -v53                            // 000000012F84: D1CB007C 84D4817C
	v_fma_f32 v125, v125, s64, -v53                            // 000000012F8C: D1CB007D 84D4817D
	v_fma_f32 v126, v126, s64, -v53                            // 000000012F94: D1CB007E 84D4817E
	v_fma_f32 v127, v127, s64, -v53                            // 000000012F9C: D1CB007F 84D4817F
	buffer_load_dwordx4 a[68:71], v31, s[20:23], 0 offen       // 000000012FA4: E05C1000 8085441F
	v_exp_f32_e32 v112, v112                                   // 000000012FAC: 7EE04170
	v_exp_f32_e32 v113, v113                                   // 000000012FB0: 7EE24171
	v_exp_f32_e32 v114, v114                                   // 000000012FB4: 7EE44172
	v_exp_f32_e32 v115, v115                                   // 000000012FB8: 7EE64173
	v_exp_f32_e32 v116, v116                                   // 000000012FBC: 7EE84174
	v_exp_f32_e32 v117, v117                                   // 000000012FC0: 7EEA4175
	v_exp_f32_e32 v118, v118                                   // 000000012FC4: 7EEC4176
	v_exp_f32_e32 v119, v119                                   // 000000012FC8: 7EEE4177
	v_exp_f32_e32 v120, v120                                   // 000000012FCC: 7EF04178
	v_exp_f32_e32 v121, v121                                   // 000000012FD0: 7EF24179
	v_exp_f32_e32 v122, v122                                   // 000000012FD4: 7EF4417A
	v_exp_f32_e32 v123, v123                                   // 000000012FD8: 7EF6417B
	v_exp_f32_e32 v124, v124                                   // 000000012FDC: 7EF8417C
	v_exp_f32_e32 v125, v125                                   // 000000012FE0: 7EFA417D
	v_exp_f32_e32 v126, v126                                   // 000000012FE4: 7EFC417E
	v_exp_f32_e32 v127, v127                                   // 000000012FE8: 7EFE417F
	buffer_load_dwordx4 a[72:75], v32, s[20:23], 0 offen       // 000000012FEC: E05C1000 80854820
	v_mul_f32_dpp v240, v252, v112 quad_perm:[0,0,0,0] row_mask:0xf bank_mask:0xf// 000000012FF4: 0BE0E0FA FF0000FC
	v_mul_f32_dpp v241, v252, v113 quad_perm:[1,1,1,1] row_mask:0xf bank_mask:0xf// 000000012FFC: 0BE2E2FA FF0055FC
	v_mul_f32_dpp v242, v252, v114 quad_perm:[2,2,2,2] row_mask:0xf bank_mask:0xf// 000000013004: 0BE4E4FA FF00AAFC
	v_mul_f32_dpp v243, v252, v115 quad_perm:[3,3,3,3] row_mask:0xf bank_mask:0xf// 00000001300C: 0BE6E6FA FF00FFFC
	v_mul_f32_dpp v244, v253, v116 quad_perm:[0,0,0,0] row_mask:0xf bank_mask:0xf// 000000013014: 0BE8E8FA FF0000FD
	v_mul_f32_dpp v245, v253, v117 quad_perm:[1,1,1,1] row_mask:0xf bank_mask:0xf// 00000001301C: 0BEAEAFA FF0055FD
	v_mul_f32_dpp v246, v253, v118 quad_perm:[2,2,2,2] row_mask:0xf bank_mask:0xf// 000000013024: 0BECECFA FF00AAFD
	v_mul_f32_dpp v247, v253, v119 quad_perm:[3,3,3,3] row_mask:0xf bank_mask:0xf// 00000001302C: 0BEEEEFA FF00FFFD
	v_mul_f32_dpp v248, v254, v120 quad_perm:[0,0,0,0] row_mask:0xf bank_mask:0xf// 000000013034: 0BF0F0FA FF0000FE
	v_mul_f32_dpp v249, v254, v121 quad_perm:[1,1,1,1] row_mask:0xf bank_mask:0xf// 00000001303C: 0BF2F2FA FF0055FE
	v_mul_f32_dpp v250, v254, v122 quad_perm:[2,2,2,2] row_mask:0xf bank_mask:0xf// 000000013044: 0BF4F4FA FF00AAFE
	v_mul_f32_dpp v251, v254, v123 quad_perm:[3,3,3,3] row_mask:0xf bank_mask:0xf// 00000001304C: 0BF6F6FA FF00FFFE
	v_mul_f32_dpp v252, v255, v124 quad_perm:[0,0,0,0] row_mask:0xf bank_mask:0xf// 000000013054: 0BF8F8FA FF0000FF
	v_mul_f32_dpp v253, v255, v125 quad_perm:[1,1,1,1] row_mask:0xf bank_mask:0xf// 00000001305C: 0BFAFAFA FF0055FF
	v_mul_f32_dpp v254, v255, v126 quad_perm:[2,2,2,2] row_mask:0xf bank_mask:0xf// 000000013064: 0BFCFCFA FF00AAFF
	v_mul_f32_dpp v255, v255, v127 quad_perm:[3,3,3,3] row_mask:0xf bank_mask:0xf// 00000001306C: 0BFEFEFA FF00FFFF
	v_mov_b32_e32 v48, 0x358637bd                              // 000000013074: 7E6002FF 358637BD
	v_max3_f32 v48, |v240|, |v241|, v48                        // 00000001307C: D1D30330 04C3E3F0
	v_max3_f32 v48, |v242|, |v243|, v48                        // 000000013084: D1D30330 04C3E7F2
	v_max3_f32 v48, |v244|, |v245|, v48                        // 00000001308C: D1D30330 04C3EBF4
	v_max3_f32 v48, |v246|, |v247|, v48                        // 000000013094: D1D30330 04C3EFF6
	v_max3_f32 v48, |v248|, |v249|, v48                        // 00000001309C: D1D30330 04C3F3F8
	v_max3_f32 v48, |v250|, |v251|, v48                        // 0000000130A4: D1D30330 04C3F7FA
	v_max3_f32 v48, |v252|, |v253|, v48                        // 0000000130AC: D1D30330 04C3FBFC
	v_max3_f32 v48, |v254|, |v255|, v48                        // 0000000130B4: D1D30330 04C3FFFE
	buffer_load_dwordx4 a[76:79], v33, s[20:23], 0 offen       // 0000000130BC: E05C1000 80854C21
	ds_write_b32 v8, v48 offset:20992                          // 0000000130C4: D81A5200 00003008
	v_sub_f32_e32 v49, v11, v15                                // 0000000130CC: 04621F0B
	v_cndmask_b32_e64 v49, v49, 0, s[40:41]                    // 0000000130D0: D1000031 00A10131
	v_mov_b32_e32 v11, v15                                     // 0000000130D8: 7E16030F
	v_mul_f32_e32 v49, s64, v49                                // 0000000130DC: 0A626240
	v_exp_f32_e32 v49, v49                                     // 0000000130E0: 7E624131
	s_waitcnt lgkmcnt(0)                                       // 0000000130E4: BF8CC07F
	s_barrier                                                  // 0000000130E8: BF8A0000
	ds_read_b32 v64, v7 offset:20992                           // 0000000130EC: D86C5200 40000007
	ds_read_b32 v65, v7 offset:21056                           // 0000000130F4: D86C5240 41000007
	ds_read_b32 v66, v7 offset:21120                           // 0000000130FC: D86C5280 42000007
	ds_read_b32 v67, v7 offset:21184                           // 000000013104: D86C52C0 43000007
	ds_read_b32 v68, v7 offset:21248                           // 00000001310C: D86C5300 44000007
	ds_read_b32 v69, v7 offset:21312                           // 000000013114: D86C5340 45000007
	ds_read_b32 v70, v7 offset:21376                           // 00000001311C: D86C5380 46000007
	ds_read_b32 v71, v7 offset:21440                           // 000000013124: D86C53C0 47000007
	ds_read_b32 v72, v7 offset:21504                           // 00000001312C: D86C5400 48000007
	ds_read_b32 v73, v7 offset:21568                           // 000000013134: D86C5440 49000007
	ds_read_b32 v74, v7 offset:21632                           // 00000001313C: D86C5480 4A000007
	ds_read_b32 v75, v7 offset:21696                           // 000000013144: D86C54C0 4B000007
	ds_read_b32 v76, v7 offset:21760                           // 00000001314C: D86C5500 4C000007
	ds_read_b32 v77, v7 offset:21824                           // 000000013154: D86C5540 4D000007
	ds_read_b32 v78, v7 offset:21888                           // 00000001315C: D86C5580 4E000007
	ds_read_b32 v79, v7 offset:21952                           // 000000013164: D86C55C0 4F000007
	v_mul_f32_e32 v38, v49, v38                                // 00000001316C: 0A4C4D31
	v_mov_b32_e32 v15, v112                                    // 000000013170: 7E1E0370
	v_add_f32_e32 v15, v113, v15                               // 000000013174: 021E1F71
	v_add_f32_e32 v15, v114, v15                               // 000000013178: 021E1F72
	v_add_f32_e32 v15, v115, v15                               // 00000001317C: 021E1F73
	v_add_f32_e32 v15, v116, v15                               // 000000013180: 021E1F74
	v_add_f32_e32 v15, v117, v15                               // 000000013184: 021E1F75
	v_add_f32_e32 v15, v118, v15                               // 000000013188: 021E1F76
	v_add_f32_e32 v15, v119, v15                               // 00000001318C: 021E1F77
	v_add_f32_e32 v15, v120, v15                               // 000000013190: 021E1F78
	v_add_f32_e32 v15, v121, v15                               // 000000013194: 021E1F79
	v_add_f32_e32 v15, v122, v15                               // 000000013198: 021E1F7A
	v_add_f32_e32 v15, v123, v15                               // 00000001319C: 021E1F7B
	v_add_f32_e32 v15, v124, v15                               // 0000000131A0: 021E1F7C
	v_add_f32_e32 v15, v125, v15                               // 0000000131A4: 021E1F7D
	v_add_f32_e32 v15, v126, v15                               // 0000000131A8: 021E1F7E
	v_add_f32_e32 v15, v127, v15                               // 0000000131AC: 021E1F7F
	v_add_f32_e32 v38, v15, v38                                // 0000000131B0: 024C4D0F
	s_waitcnt lgkmcnt(0)                                       // 0000000131B4: BF8CC07F
	v_max3_f32 v48, |v64|, |v65|, v48                          // 0000000131B8: D1D30330 04C28340
	v_max3_f32 v48, |v66|, |v67|, v48                          // 0000000131C0: D1D30330 04C28742
	v_max3_f32 v48, |v68|, |v69|, v48                          // 0000000131C8: D1D30330 04C28B44
	v_max3_f32 v48, |v70|, |v71|, v48                          // 0000000131D0: D1D30330 04C28F46
	v_max3_f32 v48, |v72|, |v73|, v48                          // 0000000131D8: D1D30330 04C29348
	v_max3_f32 v48, |v74|, |v75|, v48                          // 0000000131E0: D1D30330 04C2974A
	v_max3_f32 v48, |v76|, |v77|, v48                          // 0000000131E8: D1D30330 04C29B4C
	v_max3_f32 v48, |v78|, |v79|, v48                          // 0000000131F0: D1D30330 04C29F4E
	s_nop 2                                                    // 0000000131F8: BF800002
	v_rcp_f32_e32 v48, v48                                     // 0000000131FC: 7E604530
	s_nop 1                                                    // 000000013200: BF800001
	v_mul_f32_e32 v48, 0x43700000, v48                         // 000000013204: 0A6060FF 43700000
	v_mul_f32_e32 v112, v48, v240                              // 00000001320C: 0AE1E130
	v_mul_f32_e32 v113, v48, v241                              // 000000013210: 0AE3E330
	v_mul_f32_e32 v114, v48, v242                              // 000000013214: 0AE5E530
	v_mul_f32_e32 v115, v48, v243                              // 000000013218: 0AE7E730
	v_mul_f32_e32 v116, v48, v244                              // 00000001321C: 0AE9E930
	v_mul_f32_e32 v117, v48, v245                              // 000000013220: 0AEBEB30
	v_mul_f32_e32 v118, v48, v246                              // 000000013224: 0AEDED30
	v_mul_f32_e32 v119, v48, v247                              // 000000013228: 0AEFEF30
	v_mul_f32_e32 v120, v48, v248                              // 00000001322C: 0AF1F130
	v_mul_f32_e32 v121, v48, v249                              // 000000013230: 0AF3F330
	v_mul_f32_e32 v122, v48, v250                              // 000000013234: 0AF5F530
	v_mul_f32_e32 v123, v48, v251                              // 000000013238: 0AF7F730
	v_mul_f32_e32 v124, v48, v252                              // 00000001323C: 0AF9F930
	v_mul_f32_e32 v125, v48, v253                              // 000000013240: 0AFBFB30
	v_mul_f32_e32 v126, v48, v254                              // 000000013244: 0AFDFD30
	v_mul_f32_e32 v127, v48, v255                              // 000000013248: 0AFFFF30
	v_cvt_pk_fp8_f32 v112, v112, v113                          // 00000001324C: D2A20070 0002E370
	v_cvt_pk_fp8_f32 v112, v114, v115 op_sel:[0,0,1]           // 000000013254: D2A24070 0002E772
	v_cvt_pk_fp8_f32 v113, v116, v117                          // 00000001325C: D2A20071 0002EB74
	v_cvt_pk_fp8_f32 v113, v118, v119 op_sel:[0,0,1]           // 000000013264: D2A24071 0002EF76
	v_cvt_pk_fp8_f32 v114, v120, v121                          // 00000001326C: D2A20072 0002F378
	v_cvt_pk_fp8_f32 v114, v122, v123 op_sel:[0,0,1]           // 000000013274: D2A24072 0002F77A
	v_cvt_pk_fp8_f32 v115, v124, v125                          // 00000001327C: D2A20073 0002FB7C
	v_cvt_pk_fp8_f32 v115, v126, v127 op_sel:[0,0,1]           // 000000013284: D2A24073 0002FF7E
	ds_write_b32 v10, v112 offset:25088                        // 00000001328C: D81A6200 0000700A
	ds_write_b32 v10, v113 offset:26112                        // 000000013294: D81A6600 0000710A
	ds_write_b32 v10, v114 offset:27136                        // 00000001329C: D81A6A00 0000720A
	ds_write_b32 v10, v115 offset:28160                        // 0000000132A4: D81A6E00 0000730A
	v_add_f32_e32 v208, v208, v176                             // 0000000132AC: 03A161D0
	v_add_f32_e32 v209, v209, v177                             // 0000000132B0: 03A363D1
	v_add_f32_e32 v210, v210, v178                             // 0000000132B4: 03A565D2
	v_add_f32_e32 v211, v211, v179                             // 0000000132B8: 03A767D3
	v_add_f32_e32 v212, v212, v180                             // 0000000132BC: 03A969D4
	v_add_f32_e32 v213, v213, v181                             // 0000000132C0: 03AB6BD5
	v_add_f32_e32 v214, v214, v182                             // 0000000132C4: 03AD6DD6
	v_add_f32_e32 v215, v215, v183                             // 0000000132C8: 03AF6FD7
	v_rcp_f32_e32 v44, v48                                     // 0000000132CC: 7E584530
	s_waitcnt lgkmcnt(0)                                       // 0000000132D0: BF8CC07F
	s_barrier                                                  // 0000000132D4: BF8A0000
	ds_read_b64 v[112:113], v9 offset:25088                    // 0000000132D8: D8EC6200 70000009
	ds_read_b64 v[114:115], v9 offset:25216                    // 0000000132E0: D8EC6280 72000009
	ds_read_b64 v[116:117], v9 offset:26112                    // 0000000132E8: D8EC6600 74000009
	ds_read_b64 v[118:119], v9 offset:26240                    // 0000000132F0: D8EC6680 76000009
	ds_read_b64 v[120:121], v9 offset:27136                    // 0000000132F8: D8EC6A00 78000009
	ds_read_b64 v[122:123], v9 offset:27264                    // 000000013300: D8EC6A80 7A000009
	ds_read_b64 v[124:125], v9 offset:28160                    // 000000013308: D8EC6E00 7C000009
	ds_read_b64 v[126:127], v9 offset:28288                    // 000000013310: D8EC6E80 7E000009
	v_mov_b32_dpp v64, v43 row_shr:4 row_mask:0xf bank_mask:0xf// 000000013318: 7E8002FA FF01142B
	v_mov_b32_dpp v65, v43 row_shl:4 row_mask:0xf bank_mask:0xf// 000000013320: 7E8202FA FF01042B
	v_cndmask_b32_e64 v248, v43, v64, s[44:45]                 // 000000013328: D10000F8 00B2812B
	v_cndmask_b32_e64 v249, v65, v43, s[44:45]                 // 000000013330: D10000F9 00B25741
	v_mov_b32_dpp v64, v248 row_shr:8 row_mask:0xf bank_mask:0xf// 000000013338: 7E8002FA FF0118F8
	v_mov_b32_dpp v65, v248 row_shl:8 row_mask:0xf bank_mask:0xf// 000000013340: 7E8202FA FF0108F8
	v_mov_b32_dpp v66, v249 row_shr:8 row_mask:0xf bank_mask:0xf// 000000013348: 7E8402FA FF0118F9
	v_mov_b32_dpp v67, v249 row_shl:8 row_mask:0xf bank_mask:0xf// 000000013350: 7E8602FA FF0108F9
	v_mov_b32_e32 v68, v248                                    // 000000013358: 7E8803F8
	v_mov_b32_e32 v69, v249                                    // 00000001335C: 7E8A03F9
	v_cndmask_b32_e64 v248, v68, v64, s[42:43]                 // 000000013360: D10000F8 00AA8144
	v_cndmask_b32_e64 v250, v68, v65, s[78:79]                 // 000000013368: D10000FA 013A8344
	v_cndmask_b32_e64 v249, v69, v66, s[42:43]                 // 000000013370: D10000F9 00AA8545
	v_cndmask_b32_e64 v251, v69, v67, s[78:79]                 // 000000013378: D10000FB 013A8745
	v_mov_b32_dpp v64, v58 row_shr:4 row_mask:0xf bank_mask:0xf// 000000013380: 7E8002FA FF01143A
	v_mov_b32_dpp v65, v58 row_shl:4 row_mask:0xf bank_mask:0xf// 000000013388: 7E8202FA FF01043A
	v_cndmask_b32_e64 v252, v58, v64, s[44:45]                 // 000000013390: D10000FC 00B2813A
	v_cndmask_b32_e64 v253, v65, v58, s[44:45]                 // 000000013398: D10000FD 00B27541
	v_mov_b32_dpp v64, v252 row_shr:8 row_mask:0xf bank_mask:0xf// 0000000133A0: 7E8002FA FF0118FC
	v_mov_b32_dpp v65, v252 row_shl:8 row_mask:0xf bank_mask:0xf// 0000000133A8: 7E8202FA FF0108FC
	v_mov_b32_dpp v66, v253 row_shr:8 row_mask:0xf bank_mask:0xf// 0000000133B0: 7E8402FA FF0118FD
	v_mov_b32_dpp v67, v253 row_shl:8 row_mask:0xf bank_mask:0xf// 0000000133B8: 7E8602FA FF0108FD
	v_mov_b32_e32 v68, v252                                    // 0000000133C0: 7E8803FC
	v_mov_b32_e32 v69, v253                                    // 0000000133C4: 7E8A03FD
	v_cndmask_b32_e64 v252, v68, v64, s[42:43]                 // 0000000133C8: D10000FC 00AA8144
	v_cndmask_b32_e64 v254, v68, v65, s[78:79]                 // 0000000133D0: D10000FE 013A8344
	v_cndmask_b32_e64 v253, v69, v66, s[42:43]                 // 0000000133D8: D10000FD 00AA8545
	v_cndmask_b32_e64 v255, v69, v67, s[78:79]                 // 0000000133E0: D10000FF 013A8745
	v_mul_f32_e32 v128, v19, v128                              // 0000000133E8: 0B010113
	v_mul_f32_e32 v129, v19, v129                              // 0000000133EC: 0B030313
	v_mul_f32_e32 v130, v19, v130                              // 0000000133F0: 0B050513
	v_mul_f32_e32 v131, v19, v131                              // 0000000133F4: 0B070713
	v_mul_f32_e32 v132, v19, v132                              // 0000000133F8: 0B090913
	v_mul_f32_e32 v133, v19, v133                              // 0000000133FC: 0B0B0B13
	v_mul_f32_e32 v134, v19, v134                              // 000000013400: 0B0D0D13
	v_mul_f32_e32 v135, v19, v135                              // 000000013404: 0B0F0F13
	v_mul_f32_e32 v136, v19, v136                              // 000000013408: 0B111113
	v_mul_f32_e32 v137, v19, v137                              // 00000001340C: 0B131313
	v_mul_f32_e32 v138, v19, v138                              // 000000013410: 0B151513
	v_mul_f32_e32 v139, v19, v139                              // 000000013414: 0B171713
	v_mul_f32_e32 v140, v19, v140                              // 000000013418: 0B191913
	v_mul_f32_e32 v141, v19, v141                              // 00000001341C: 0B1B1B13
	v_mul_f32_e32 v142, v19, v142                              // 000000013420: 0B1D1D13
	v_mul_f32_e32 v143, v19, v143                              // 000000013424: 0B1F1F13
	v_mul_f32_dpp v128, v248, v128 quad_perm:[0,0,0,0] row_mask:0xf bank_mask:0xf// 000000013428: 0B0100FA FF0000F8
	v_mul_f32_dpp v129, v248, v129 quad_perm:[1,1,1,1] row_mask:0xf bank_mask:0xf// 000000013430: 0B0302FA FF0055F8
	v_mul_f32_dpp v130, v248, v130 quad_perm:[2,2,2,2] row_mask:0xf bank_mask:0xf// 000000013438: 0B0504FA FF00AAF8
	v_mul_f32_dpp v131, v248, v131 quad_perm:[3,3,3,3] row_mask:0xf bank_mask:0xf// 000000013440: 0B0706FA FF00FFF8
	v_mul_f32_dpp v132, v249, v132 quad_perm:[0,0,0,0] row_mask:0xf bank_mask:0xf// 000000013448: 0B0908FA FF0000F9
	v_mul_f32_dpp v133, v249, v133 quad_perm:[1,1,1,1] row_mask:0xf bank_mask:0xf// 000000013450: 0B0B0AFA FF0055F9
	v_mul_f32_dpp v134, v249, v134 quad_perm:[2,2,2,2] row_mask:0xf bank_mask:0xf// 000000013458: 0B0D0CFA FF00AAF9
	v_mul_f32_dpp v135, v249, v135 quad_perm:[3,3,3,3] row_mask:0xf bank_mask:0xf// 000000013460: 0B0F0EFA FF00FFF9
	v_mul_f32_dpp v136, v250, v136 quad_perm:[0,0,0,0] row_mask:0xf bank_mask:0xf// 000000013468: 0B1110FA FF0000FA
	v_mul_f32_dpp v137, v250, v137 quad_perm:[1,1,1,1] row_mask:0xf bank_mask:0xf// 000000013470: 0B1312FA FF0055FA
	v_mul_f32_dpp v138, v250, v138 quad_perm:[2,2,2,2] row_mask:0xf bank_mask:0xf// 000000013478: 0B1514FA FF00AAFA
	v_mul_f32_dpp v139, v250, v139 quad_perm:[3,3,3,3] row_mask:0xf bank_mask:0xf// 000000013480: 0B1716FA FF00FFFA
	v_mul_f32_dpp v140, v251, v140 quad_perm:[0,0,0,0] row_mask:0xf bank_mask:0xf// 000000013488: 0B1918FA FF0000FB
	v_mul_f32_dpp v141, v251, v141 quad_perm:[1,1,1,1] row_mask:0xf bank_mask:0xf// 000000013490: 0B1B1AFA FF0055FB
	v_mul_f32_dpp v142, v251, v142 quad_perm:[2,2,2,2] row_mask:0xf bank_mask:0xf// 000000013498: 0B1D1CFA FF00AAFB
	v_mul_f32_dpp v143, v251, v143 quad_perm:[3,3,3,3] row_mask:0xf bank_mask:0xf// 0000000134A0: 0B1F1EFA FF00FFFB
	s_cmp_le_i32 s90, s89                                      // 0000000134A8: BF05595A
	s_cbranch_scc1 label_451D                                  // 0000000134AC: BF850071
	v_mov_b32_e32 v66, 0xff800000                              // 0000000134B0: 7E8402FF FF800000
	s_mov_b32 s60, s90                                         // 0000000134B8: BEBC005A
	s_add_u32 s61, s89, 0xff                                   // 0000000134BC: 803DFF59 000000FF
	v_mov_b32_e32 v64, s61                                     // 0000000134C4: 7E80023D
	v_lshrrev_b32_e32 v240, 4, v0                              // 0000000134C8: 21E00084
	v_mul_i32_i24_e32 v240, 4, v240                            // 0000000134CC: 0DE1E084
	v_add_u32_e32 v240, s60, v240                              // 0000000134D0: 69E1E03C
	s_mov_b32 s61, 1                                           // 0000000134D4: BEBD0081
	s_mul_i32 s60, 16, s7                                      // 0000000134D8: 923C0790
	v_sub_u32_e64 v240, v240, s61                              // 0000000134DC: D13500F0 00007BF0
	v_add_u32_e32 v240, s60, v240                              // 0000000134E4: 69E1E03C
	v_add_u32_e32 v241, 1, v240                                // 0000000134E8: 69E3E081
	v_add_u32_e32 v242, 2, v240                                // 0000000134EC: 69E5E082
	v_add_u32_e32 v243, 3, v240                                // 0000000134F0: 69E7E083
	v_cmp_le_u32_e64 s[40:41], v240, v64                       // 0000000134F4: D0CB0028 000281F0
	v_add_u32_e32 v240, 64, v240                               // 0000000134FC: 69E1E0C0
	s_nop 0                                                    // 000000013500: BF800000
	v_cndmask_b32_e64 v128, v66, v128, s[40:41]                // 000000013504: D1000080 00A30142
	v_cmp_le_u32_e64 s[40:41], v241, v64                       // 00000001350C: D0CB0028 000281F1
	v_add_u32_e32 v241, 64, v241                               // 000000013514: 69E3E2C0
	s_nop 0                                                    // 000000013518: BF800000
	v_cndmask_b32_e64 v129, v66, v129, s[40:41]                // 00000001351C: D1000081 00A30342
	v_cmp_le_u32_e64 s[40:41], v242, v64                       // 000000013524: D0CB0028 000281F2
	v_add_u32_e32 v242, 64, v242                               // 00000001352C: 69E5E4C0
	s_nop 0                                                    // 000000013530: BF800000
	v_cndmask_b32_e64 v130, v66, v130, s[40:41]                // 000000013534: D1000082 00A30542
	v_cmp_le_u32_e64 s[40:41], v243, v64                       // 00000001353C: D0CB0028 000281F3
	v_add_u32_e32 v243, 64, v243                               // 000000013544: 69E7E6C0
	s_nop 0                                                    // 000000013548: BF800000
	v_cndmask_b32_e64 v131, v66, v131, s[40:41]                // 00000001354C: D1000083 00A30742
	v_cmp_le_u32_e64 s[40:41], v240, v64                       // 000000013554: D0CB0028 000281F0
	v_add_u32_e32 v240, 64, v240                               // 00000001355C: 69E1E0C0
	s_nop 0                                                    // 000000013560: BF800000
	v_cndmask_b32_e64 v132, v66, v132, s[40:41]                // 000000013564: D1000084 00A30942
	v_cmp_le_u32_e64 s[40:41], v241, v64                       // 00000001356C: D0CB0028 000281F1
	v_add_u32_e32 v241, 64, v241                               // 000000013574: 69E3E2C0
	s_nop 0                                                    // 000000013578: BF800000
	v_cndmask_b32_e64 v133, v66, v133, s[40:41]                // 00000001357C: D1000085 00A30B42
	v_cmp_le_u32_e64 s[40:41], v242, v64                       // 000000013584: D0CB0028 000281F2
	v_add_u32_e32 v242, 64, v242                               // 00000001358C: 69E5E4C0
	s_nop 0                                                    // 000000013590: BF800000
	v_cndmask_b32_e64 v134, v66, v134, s[40:41]                // 000000013594: D1000086 00A30D42
	v_cmp_le_u32_e64 s[40:41], v243, v64                       // 00000001359C: D0CB0028 000281F3
	v_add_u32_e32 v243, 64, v243                               // 0000000135A4: 69E7E6C0
	s_nop 0                                                    // 0000000135A8: BF800000
	v_cndmask_b32_e64 v135, v66, v135, s[40:41]                // 0000000135AC: D1000087 00A30F42
	v_cmp_le_u32_e64 s[40:41], v240, v64                       // 0000000135B4: D0CB0028 000281F0
	v_add_u32_e32 v240, 64, v240                               // 0000000135BC: 69E1E0C0
	s_nop 0                                                    // 0000000135C0: BF800000
	v_cndmask_b32_e64 v136, v66, v136, s[40:41]                // 0000000135C4: D1000088 00A31142
	v_cmp_le_u32_e64 s[40:41], v241, v64                       // 0000000135CC: D0CB0028 000281F1
	v_add_u32_e32 v241, 64, v241                               // 0000000135D4: 69E3E2C0
	s_nop 0                                                    // 0000000135D8: BF800000
	v_cndmask_b32_e64 v137, v66, v137, s[40:41]                // 0000000135DC: D1000089 00A31342
	v_cmp_le_u32_e64 s[40:41], v242, v64                       // 0000000135E4: D0CB0028 000281F2
	v_add_u32_e32 v242, 64, v242                               // 0000000135EC: 69E5E4C0
	s_nop 0                                                    // 0000000135F0: BF800000
	v_cndmask_b32_e64 v138, v66, v138, s[40:41]                // 0000000135F4: D100008A 00A31542
	v_cmp_le_u32_e64 s[40:41], v243, v64                       // 0000000135FC: D0CB0028 000281F3
	v_add_u32_e32 v243, 64, v243                               // 000000013604: 69E7E6C0
	s_nop 0                                                    // 000000013608: BF800000
	v_cndmask_b32_e64 v139, v66, v139, s[40:41]                // 00000001360C: D100008B 00A31742
	v_cmp_le_u32_e64 s[40:41], v240, v64                       // 000000013614: D0CB0028 000281F0
	v_add_u32_e32 v240, 64, v240                               // 00000001361C: 69E1E0C0
	s_nop 0                                                    // 000000013620: BF800000
	v_cndmask_b32_e64 v140, v66, v140, s[40:41]                // 000000013624: D100008C 00A31942
	v_cmp_le_u32_e64 s[40:41], v241, v64                       // 00000001362C: D0CB0028 000281F1
	v_add_u32_e32 v241, 64, v241                               // 000000013634: 69E3E2C0
	s_nop 0                                                    // 000000013638: BF800000
	v_cndmask_b32_e64 v141, v66, v141, s[40:41]                // 00000001363C: D100008D 00A31B42
	v_cmp_le_u32_e64 s[40:41], v242, v64                       // 000000013644: D0CB0028 000281F2
	v_add_u32_e32 v242, 64, v242                               // 00000001364C: 69E5E4C0
	s_nop 0                                                    // 000000013650: BF800000
	v_cndmask_b32_e64 v142, v66, v142, s[40:41]                // 000000013654: D100008E 00A31D42
	v_cmp_le_u32_e64 s[40:41], v243, v64                       // 00000001365C: D0CB0028 000281F3
	v_add_u32_e32 v243, 64, v243                               // 000000013664: 69E7E6C0
	s_nop 0                                                    // 000000013668: BF800000
	v_cndmask_b32_e64 v143, v66, v143, s[40:41]                // 00000001366C: D100008F 00A31F42

0000000000013674 <label_451D>:
	v_mov_b32_e32 v48, v128                                    // 000000013674: 7E600380
	v_max3_f32 v48, v128, v129, v48                            // 000000013678: D1D30030 04C30380
	v_max3_f32 v48, v130, v131, v48                            // 000000013680: D1D30030 04C30782
	v_max3_f32 v48, v132, v133, v48                            // 000000013688: D1D30030 04C30B84
	v_max3_f32 v48, v134, v135, v48                            // 000000013690: D1D30030 04C30F86
	v_max3_f32 v48, v136, v137, v48                            // 000000013698: D1D30030 04C31388
	v_max3_f32 v48, v138, v139, v48                            // 0000000136A0: D1D30030 04C3178A
	v_max3_f32 v48, v140, v141, v48                            // 0000000136A8: D1D30030 04C31B8C
	v_max3_f32 v48, v142, v143, v48                            // 0000000136B0: D1D30030 04C31F8E
	ds_write_b32 v8, v48 offset:16896                          // 0000000136B8: D81A4200 00003008
	v_mul_f32_e32 v216, v50, v216                              // 0000000136C0: 0BB1B132
	v_mul_f32_e32 v217, v50, v217                              // 0000000136C4: 0BB3B332
	v_mul_f32_e32 v218, v50, v218                              // 0000000136C8: 0BB5B532
	v_mul_f32_e32 v219, v50, v219                              // 0000000136CC: 0BB7B732
	v_mul_f32_e32 v220, v50, v220                              // 0000000136D0: 0BB9B932
	v_mul_f32_e32 v221, v50, v221                              // 0000000136D4: 0BBBBB32
	v_mul_f32_e32 v222, v50, v222                              // 0000000136D8: 0BBDBD32
	v_mul_f32_e32 v223, v50, v223                              // 0000000136DC: 0BBFBF32
	s_waitcnt lgkmcnt(0)                                       // 0000000136E0: BF8CC07F
	s_barrier                                                  // 0000000136E4: BF8A0000
	ds_read_b32 v64, v7 offset:16896                           // 0000000136E8: D86C4200 40000007
	ds_read_b32 v65, v7 offset:16960                           // 0000000136F0: D86C4240 41000007
	ds_read_b32 v66, v7 offset:17024                           // 0000000136F8: D86C4280 42000007
	ds_read_b32 v67, v7 offset:17088                           // 000000013700: D86C42C0 43000007
	ds_read_b32 v68, v7 offset:17152                           // 000000013708: D86C4300 44000007
	ds_read_b32 v69, v7 offset:17216                           // 000000013710: D86C4340 45000007
	ds_read_b32 v70, v7 offset:17280                           // 000000013718: D86C4380 46000007
	ds_read_b32 v71, v7 offset:17344                           // 000000013720: D86C43C0 47000007
	ds_read_b32 v72, v7 offset:17408                           // 000000013728: D86C4400 48000007
	ds_read_b32 v73, v7 offset:17472                           // 000000013730: D86C4440 49000007
	ds_read_b32 v74, v7 offset:17536                           // 000000013738: D86C4480 4A000007
	ds_read_b32 v75, v7 offset:17600                           // 000000013740: D86C44C0 4B000007
	ds_read_b32 v76, v7 offset:17664                           // 000000013748: D86C4500 4C000007
	ds_read_b32 v77, v7 offset:17728                           // 000000013750: D86C4540 4D000007
	ds_read_b32 v78, v7 offset:17792                           // 000000013758: D86C4580 4E000007
	ds_read_b32 v79, v7 offset:17856                           // 000000013760: D86C45C0 4F000007
	v_mul_f32_e32 v184, v45, v184                              // 000000013768: 0B71712D
	v_mul_f32_e32 v185, v45, v185                              // 00000001376C: 0B73732D
	v_mul_f32_e32 v186, v45, v186                              // 000000013770: 0B75752D
	v_mul_f32_e32 v187, v45, v187                              // 000000013774: 0B77772D
	v_mul_f32_e32 v188, v45, v188                              // 000000013778: 0B79792D
	v_mul_f32_e32 v189, v45, v189                              // 00000001377C: 0B7B7B2D
	v_mul_f32_e32 v190, v45, v190                              // 000000013780: 0B7D7D2D
	v_mul_f32_e32 v191, v45, v191                              // 000000013784: 0B7F7F2D
	s_waitcnt lgkmcnt(0)                                       // 000000013788: BF8CC07F
	v_max3_f32 v48, v64, v65, v48                              // 00000001378C: D1D30030 04C28340
	v_max3_f32 v48, v66, v67, v48                              // 000000013794: D1D30030 04C28742
	v_max3_f32 v48, v68, v69, v48                              // 00000001379C: D1D30030 04C28B44
	v_max3_f32 v48, v70, v71, v48                              // 0000000137A4: D1D30030 04C28F46
	v_max3_f32 v48, v72, v73, v48                              // 0000000137AC: D1D30030 04C29348
	v_max3_f32 v48, v74, v75, v48                              // 0000000137B4: D1D30030 04C2974A
	v_max3_f32 v48, v76, v77, v48                              // 0000000137BC: D1D30030 04C29B4C
	v_max3_f32 v48, v78, v79, v48                              // 0000000137C4: D1D30030 04C29F4E
	v_mov_b32_e32 v64, 0xff800000                              // 0000000137CC: 7E8002FF FF800000
	v_cmp_eq_u32_e64 s[40:41], v64, v12                        // 0000000137D4: D0CA0028 00021940
	s_nop 1                                                    // 0000000137DC: BF800001
	v_max_f32_e32 v15, v48, v12                                // 0000000137E0: 161E1930
	v_mul_f32_e32 v53, s64, v15                                // 0000000137E4: 0A6A1E40
	v_fma_f32 v128, v128, s64, -v53                            // 0000000137E8: D1CB0080 84D48180
	v_fma_f32 v129, v129, s64, -v53                            // 0000000137F0: D1CB0081 84D48181
	v_fma_f32 v130, v130, s64, -v53                            // 0000000137F8: D1CB0082 84D48182
	v_fma_f32 v131, v131, s64, -v53                            // 000000013800: D1CB0083 84D48183
	v_fma_f32 v132, v132, s64, -v53                            // 000000013808: D1CB0084 84D48184
	v_fma_f32 v133, v133, s64, -v53                            // 000000013810: D1CB0085 84D48185
	v_fma_f32 v134, v134, s64, -v53                            // 000000013818: D1CB0086 84D48186
	v_fma_f32 v135, v135, s64, -v53                            // 000000013820: D1CB0087 84D48187
	v_fma_f32 v136, v136, s64, -v53                            // 000000013828: D1CB0088 84D48188
	v_fma_f32 v137, v137, s64, -v53                            // 000000013830: D1CB0089 84D48189
	v_fma_f32 v138, v138, s64, -v53                            // 000000013838: D1CB008A 84D4818A
	v_fma_f32 v139, v139, s64, -v53                            // 000000013840: D1CB008B 84D4818B
	v_fma_f32 v140, v140, s64, -v53                            // 000000013848: D1CB008C 84D4818C
	v_fma_f32 v141, v141, s64, -v53                            // 000000013850: D1CB008D 84D4818D
	v_fma_f32 v142, v142, s64, -v53                            // 000000013858: D1CB008E 84D4818E
	v_fma_f32 v143, v143, s64, -v53                            // 000000013860: D1CB008F 84D4818F
	v_exp_f32_e32 v128, v128                                   // 000000013868: 7F004180
	v_exp_f32_e32 v129, v129                                   // 00000001386C: 7F024181
	v_exp_f32_e32 v130, v130                                   // 000000013870: 7F044182
	v_exp_f32_e32 v131, v131                                   // 000000013874: 7F064183
	v_exp_f32_e32 v132, v132                                   // 000000013878: 7F084184
	v_exp_f32_e32 v133, v133                                   // 00000001387C: 7F0A4185
	v_exp_f32_e32 v134, v134                                   // 000000013880: 7F0C4186
	v_exp_f32_e32 v135, v135                                   // 000000013884: 7F0E4187
	v_exp_f32_e32 v136, v136                                   // 000000013888: 7F104188
	v_exp_f32_e32 v137, v137                                   // 00000001388C: 7F124189
	v_exp_f32_e32 v138, v138                                   // 000000013890: 7F14418A
	v_exp_f32_e32 v139, v139                                   // 000000013894: 7F16418B
	v_exp_f32_e32 v140, v140                                   // 000000013898: 7F18418C
	v_exp_f32_e32 v141, v141                                   // 00000001389C: 7F1A418D
	v_exp_f32_e32 v142, v142                                   // 0000000138A0: 7F1C418E
	v_exp_f32_e32 v143, v143                                   // 0000000138A4: 7F1E418F
	v_mul_f32_dpp v240, v252, v128 quad_perm:[0,0,0,0] row_mask:0xf bank_mask:0xf// 0000000138A8: 0BE100FA FF0000FC
	v_mul_f32_dpp v241, v252, v129 quad_perm:[1,1,1,1] row_mask:0xf bank_mask:0xf// 0000000138B0: 0BE302FA FF0055FC
	v_mul_f32_dpp v242, v252, v130 quad_perm:[2,2,2,2] row_mask:0xf bank_mask:0xf// 0000000138B8: 0BE504FA FF00AAFC
	v_mul_f32_dpp v243, v252, v131 quad_perm:[3,3,3,3] row_mask:0xf bank_mask:0xf// 0000000138C0: 0BE706FA FF00FFFC
	v_mul_f32_dpp v244, v253, v132 quad_perm:[0,0,0,0] row_mask:0xf bank_mask:0xf// 0000000138C8: 0BE908FA FF0000FD
	v_mul_f32_dpp v245, v253, v133 quad_perm:[1,1,1,1] row_mask:0xf bank_mask:0xf// 0000000138D0: 0BEB0AFA FF0055FD
	v_mul_f32_dpp v246, v253, v134 quad_perm:[2,2,2,2] row_mask:0xf bank_mask:0xf// 0000000138D8: 0BED0CFA FF00AAFD
	v_mul_f32_dpp v247, v253, v135 quad_perm:[3,3,3,3] row_mask:0xf bank_mask:0xf// 0000000138E0: 0BEF0EFA FF00FFFD
	v_mul_f32_dpp v248, v254, v136 quad_perm:[0,0,0,0] row_mask:0xf bank_mask:0xf// 0000000138E8: 0BF110FA FF0000FE
	v_mul_f32_dpp v249, v254, v137 quad_perm:[1,1,1,1] row_mask:0xf bank_mask:0xf// 0000000138F0: 0BF312FA FF0055FE
	v_mul_f32_dpp v250, v254, v138 quad_perm:[2,2,2,2] row_mask:0xf bank_mask:0xf// 0000000138F8: 0BF514FA FF00AAFE
	v_mul_f32_dpp v251, v254, v139 quad_perm:[3,3,3,3] row_mask:0xf bank_mask:0xf// 000000013900: 0BF716FA FF00FFFE
	v_mul_f32_dpp v252, v255, v140 quad_perm:[0,0,0,0] row_mask:0xf bank_mask:0xf// 000000013908: 0BF918FA FF0000FF
	v_mul_f32_dpp v253, v255, v141 quad_perm:[1,1,1,1] row_mask:0xf bank_mask:0xf// 000000013910: 0BFB1AFA FF0055FF
	v_mul_f32_dpp v254, v255, v142 quad_perm:[2,2,2,2] row_mask:0xf bank_mask:0xf// 000000013918: 0BFD1CFA FF00AAFF
	v_mul_f32_dpp v255, v255, v143 quad_perm:[3,3,3,3] row_mask:0xf bank_mask:0xf// 000000013920: 0BFF1EFA FF00FFFF
	v_mov_b32_e32 v48, 0x358637bd                              // 000000013928: 7E6002FF 358637BD
	v_max3_f32 v48, |v240|, |v241|, v48                        // 000000013930: D1D30330 04C3E3F0
	v_max3_f32 v48, |v242|, |v243|, v48                        // 000000013938: D1D30330 04C3E7F2
	v_max3_f32 v48, |v244|, |v245|, v48                        // 000000013940: D1D30330 04C3EBF4
	v_max3_f32 v48, |v246|, |v247|, v48                        // 000000013948: D1D30330 04C3EFF6
	v_max3_f32 v48, |v248|, |v249|, v48                        // 000000013950: D1D30330 04C3F3F8
	v_max3_f32 v48, |v250|, |v251|, v48                        // 000000013958: D1D30330 04C3F7FA
	v_max3_f32 v48, |v252|, |v253|, v48                        // 000000013960: D1D30330 04C3FBFC
	v_max3_f32 v48, |v254|, |v255|, v48                        // 000000013968: D1D30330 04C3FFFE
	ds_write_b32 v8, v48 offset:20992                          // 000000013970: D81A5200 00003008
	v_sub_f32_e32 v50, v12, v15                                // 000000013978: 04641F0C
	v_cndmask_b32_e64 v50, v50, 0, s[40:41]                    // 00000001397C: D1000032 00A10132
	v_mov_b32_e32 v12, v15                                     // 000000013984: 7E18030F
	v_mul_f32_e32 v50, s64, v50                                // 000000013988: 0A646440
	v_exp_f32_e32 v50, v50                                     // 00000001398C: 7E644132
	s_waitcnt lgkmcnt(0)                                       // 000000013990: BF8CC07F
	s_barrier                                                  // 000000013994: BF8A0000
	ds_read_b32 v64, v7 offset:20992                           // 000000013998: D86C5200 40000007
	ds_read_b32 v65, v7 offset:21056                           // 0000000139A0: D86C5240 41000007
	ds_read_b32 v66, v7 offset:21120                           // 0000000139A8: D86C5280 42000007
	ds_read_b32 v67, v7 offset:21184                           // 0000000139B0: D86C52C0 43000007
	ds_read_b32 v68, v7 offset:21248                           // 0000000139B8: D86C5300 44000007
	ds_read_b32 v69, v7 offset:21312                           // 0000000139C0: D86C5340 45000007
	ds_read_b32 v70, v7 offset:21376                           // 0000000139C8: D86C5380 46000007
	ds_read_b32 v71, v7 offset:21440                           // 0000000139D0: D86C53C0 47000007
	ds_read_b32 v72, v7 offset:21504                           // 0000000139D8: D86C5400 48000007
	ds_read_b32 v73, v7 offset:21568                           // 0000000139E0: D86C5440 49000007
	ds_read_b32 v74, v7 offset:21632                           // 0000000139E8: D86C5480 4A000007
	ds_read_b32 v75, v7 offset:21696                           // 0000000139F0: D86C54C0 4B000007
	ds_read_b32 v76, v7 offset:21760                           // 0000000139F8: D86C5500 4C000007
	ds_read_b32 v77, v7 offset:21824                           // 000000013A00: D86C5540 4D000007
	ds_read_b32 v78, v7 offset:21888                           // 000000013A08: D86C5580 4E000007
	ds_read_b32 v79, v7 offset:21952                           // 000000013A10: D86C55C0 4F000007
	v_mul_f32_e32 v39, v50, v39                                // 000000013A18: 0A4E4F32
	v_mov_b32_e32 v15, v128                                    // 000000013A1C: 7E1E0380
	v_add_f32_e32 v15, v129, v15                               // 000000013A20: 021E1F81
	v_add_f32_e32 v15, v130, v15                               // 000000013A24: 021E1F82
	v_add_f32_e32 v15, v131, v15                               // 000000013A28: 021E1F83
	v_add_f32_e32 v15, v132, v15                               // 000000013A2C: 021E1F84
	v_add_f32_e32 v15, v133, v15                               // 000000013A30: 021E1F85
	v_add_f32_e32 v15, v134, v15                               // 000000013A34: 021E1F86
	v_add_f32_e32 v15, v135, v15                               // 000000013A38: 021E1F87
	v_add_f32_e32 v15, v136, v15                               // 000000013A3C: 021E1F88
	v_add_f32_e32 v15, v137, v15                               // 000000013A40: 021E1F89
	v_add_f32_e32 v15, v138, v15                               // 000000013A44: 021E1F8A
	v_add_f32_e32 v15, v139, v15                               // 000000013A48: 021E1F8B
	v_add_f32_e32 v15, v140, v15                               // 000000013A4C: 021E1F8C
	v_add_f32_e32 v15, v141, v15                               // 000000013A50: 021E1F8D
	v_add_f32_e32 v15, v142, v15                               // 000000013A54: 021E1F8E
	v_add_f32_e32 v15, v143, v15                               // 000000013A58: 021E1F8F
	v_add_f32_e32 v39, v15, v39                                // 000000013A5C: 024E4F0F
	s_waitcnt lgkmcnt(0)                                       // 000000013A60: BF8CC07F
	v_max3_f32 v48, |v64|, |v65|, v48                          // 000000013A64: D1D30330 04C28340
	v_max3_f32 v48, |v66|, |v67|, v48                          // 000000013A6C: D1D30330 04C28742
	v_max3_f32 v48, |v68|, |v69|, v48                          // 000000013A74: D1D30330 04C28B44
	v_max3_f32 v48, |v70|, |v71|, v48                          // 000000013A7C: D1D30330 04C28F46
	v_max3_f32 v48, |v72|, |v73|, v48                          // 000000013A84: D1D30330 04C29348
	v_max3_f32 v48, |v74|, |v75|, v48                          // 000000013A8C: D1D30330 04C2974A
	v_max3_f32 v48, |v76|, |v77|, v48                          // 000000013A94: D1D30330 04C29B4C
	v_max3_f32 v48, |v78|, |v79|, v48                          // 000000013A9C: D1D30330 04C29F4E
	s_nop 2                                                    // 000000013AA4: BF800002
	v_rcp_f32_e32 v48, v48                                     // 000000013AA8: 7E604530
	s_nop 1                                                    // 000000013AAC: BF800001
	v_mul_f32_e32 v48, 0x43700000, v48                         // 000000013AB0: 0A6060FF 43700000
	v_mul_f32_e32 v128, v48, v240                              // 000000013AB8: 0B01E130
	v_mul_f32_e32 v129, v48, v241                              // 000000013ABC: 0B03E330
	v_mul_f32_e32 v130, v48, v242                              // 000000013AC0: 0B05E530
	v_mul_f32_e32 v131, v48, v243                              // 000000013AC4: 0B07E730
	v_mul_f32_e32 v132, v48, v244                              // 000000013AC8: 0B09E930
	v_mul_f32_e32 v133, v48, v245                              // 000000013ACC: 0B0BEB30
	v_mul_f32_e32 v134, v48, v246                              // 000000013AD0: 0B0DED30
	v_mul_f32_e32 v135, v48, v247                              // 000000013AD4: 0B0FEF30
	v_mul_f32_e32 v136, v48, v248                              // 000000013AD8: 0B11F130
	v_mul_f32_e32 v137, v48, v249                              // 000000013ADC: 0B13F330
	v_mul_f32_e32 v138, v48, v250                              // 000000013AE0: 0B15F530
	v_mul_f32_e32 v139, v48, v251                              // 000000013AE4: 0B17F730
	v_mul_f32_e32 v140, v48, v252                              // 000000013AE8: 0B19F930
	v_mul_f32_e32 v141, v48, v253                              // 000000013AEC: 0B1BFB30
	v_mul_f32_e32 v142, v48, v254                              // 000000013AF0: 0B1DFD30
	v_mul_f32_e32 v143, v48, v255                              // 000000013AF4: 0B1FFF30
	v_cvt_pk_fp8_f32 v128, v128, v129                          // 000000013AF8: D2A20080 00030380
	v_cvt_pk_fp8_f32 v128, v130, v131 op_sel:[0,0,1]           // 000000013B00: D2A24080 00030782
	v_cvt_pk_fp8_f32 v129, v132, v133                          // 000000013B08: D2A20081 00030B84
	v_cvt_pk_fp8_f32 v129, v134, v135 op_sel:[0,0,1]           // 000000013B10: D2A24081 00030F86
	v_cvt_pk_fp8_f32 v130, v136, v137                          // 000000013B18: D2A20082 00031388
	v_cvt_pk_fp8_f32 v130, v138, v139 op_sel:[0,0,1]           // 000000013B20: D2A24082 0003178A
	v_cvt_pk_fp8_f32 v131, v140, v141                          // 000000013B28: D2A20083 00031B8C
	v_cvt_pk_fp8_f32 v131, v142, v143 op_sel:[0,0,1]           // 000000013B30: D2A24083 00031F8E
	ds_write_b32 v10, v128 offset:29184                        // 000000013B38: D81A7200 0000800A
	ds_write_b32 v10, v129 offset:30208                        // 000000013B40: D81A7600 0000810A
	ds_write_b32 v10, v130 offset:31232                        // 000000013B48: D81A7A00 0000820A
	ds_write_b32 v10, v131 offset:32256                        // 000000013B50: D81A7E00 0000830A
	v_add_f32_e32 v216, v216, v184                             // 000000013B58: 03B171D8
	v_add_f32_e32 v217, v217, v185                             // 000000013B5C: 03B373D9
	v_add_f32_e32 v218, v218, v186                             // 000000013B60: 03B575DA
	v_add_f32_e32 v219, v219, v187                             // 000000013B64: 03B777DB
	v_add_f32_e32 v220, v220, v188                             // 000000013B68: 03B979DC
	v_add_f32_e32 v221, v221, v189                             // 000000013B6C: 03BB7BDD
	v_add_f32_e32 v222, v222, v190                             // 000000013B70: 03BD7DDE
	v_add_f32_e32 v223, v223, v191                             // 000000013B74: 03BF7FDF
	v_rcp_f32_e32 v45, v48                                     // 000000013B78: 7E5A4530
	s_waitcnt lgkmcnt(0)                                       // 000000013B7C: BF8CC07F
	s_barrier                                                  // 000000013B80: BF8A0000
	ds_read_b64 v[128:129], v9 offset:29184                    // 000000013B84: D8EC7200 80000009
	ds_read_b64 v[130:131], v9 offset:29312                    // 000000013B8C: D8EC7280 82000009
	ds_read_b64 v[132:133], v9 offset:30208                    // 000000013B94: D8EC7600 84000009
	ds_read_b64 v[134:135], v9 offset:30336                    // 000000013B9C: D8EC7680 86000009
	ds_read_b64 v[136:137], v9 offset:31232                    // 000000013BA4: D8EC7A00 88000009
	ds_read_b64 v[138:139], v9 offset:31360                    // 000000013BAC: D8EC7A80 8A000009
	ds_read_b64 v[140:141], v9 offset:32256                    // 000000013BB4: D8EC7E00 8C000009
	ds_read_b64 v[142:143], v9 offset:32384                    // 000000013BBC: D8EC7E80 8E000009
	v_mov_b32_dpp v64, v43 row_shr:4 row_mask:0xf bank_mask:0xf// 000000013BC4: 7E8002FA FF01142B
	v_mov_b32_dpp v65, v43 row_shl:4 row_mask:0xf bank_mask:0xf// 000000013BCC: 7E8202FA FF01042B
	v_cndmask_b32_e64 v248, v43, v64, s[44:45]                 // 000000013BD4: D10000F8 00B2812B
	v_cndmask_b32_e64 v249, v65, v43, s[44:45]                 // 000000013BDC: D10000F9 00B25741
	v_mov_b32_dpp v64, v248 row_shr:8 row_mask:0xf bank_mask:0xf// 000000013BE4: 7E8002FA FF0118F8
	v_mov_b32_dpp v65, v248 row_shl:8 row_mask:0xf bank_mask:0xf// 000000013BEC: 7E8202FA FF0108F8
	v_mov_b32_dpp v66, v249 row_shr:8 row_mask:0xf bank_mask:0xf// 000000013BF4: 7E8402FA FF0118F9
	v_mov_b32_dpp v67, v249 row_shl:8 row_mask:0xf bank_mask:0xf// 000000013BFC: 7E8602FA FF0108F9
	v_mov_b32_e32 v68, v248                                    // 000000013C04: 7E8803F8
	v_mov_b32_e32 v69, v249                                    // 000000013C08: 7E8A03F9
	v_cndmask_b32_e64 v248, v68, v64, s[42:43]                 // 000000013C0C: D10000F8 00AA8144
	v_cndmask_b32_e64 v250, v68, v65, s[78:79]                 // 000000013C14: D10000FA 013A8344
	v_cndmask_b32_e64 v249, v69, v66, s[42:43]                 // 000000013C1C: D10000F9 00AA8545
	v_cndmask_b32_e64 v251, v69, v67, s[78:79]                 // 000000013C24: D10000FB 013A8745
	v_mov_b32_dpp v64, v58 row_shr:4 row_mask:0xf bank_mask:0xf// 000000013C2C: 7E8002FA FF01143A
	v_mov_b32_dpp v65, v58 row_shl:4 row_mask:0xf bank_mask:0xf// 000000013C34: 7E8202FA FF01043A
	v_cndmask_b32_e64 v252, v58, v64, s[44:45]                 // 000000013C3C: D10000FC 00B2813A
	v_cndmask_b32_e64 v253, v65, v58, s[44:45]                 // 000000013C44: D10000FD 00B27541
	v_mov_b32_dpp v64, v252 row_shr:8 row_mask:0xf bank_mask:0xf// 000000013C4C: 7E8002FA FF0118FC
	v_mov_b32_dpp v65, v252 row_shl:8 row_mask:0xf bank_mask:0xf// 000000013C54: 7E8202FA FF0108FC
	v_mov_b32_dpp v66, v253 row_shr:8 row_mask:0xf bank_mask:0xf// 000000013C5C: 7E8402FA FF0118FD
	v_mov_b32_dpp v67, v253 row_shl:8 row_mask:0xf bank_mask:0xf// 000000013C64: 7E8602FA FF0108FD
	v_mov_b32_e32 v68, v252                                    // 000000013C6C: 7E8803FC
	v_mov_b32_e32 v69, v253                                    // 000000013C70: 7E8A03FD
	v_cndmask_b32_e64 v252, v68, v64, s[42:43]                 // 000000013C74: D10000FC 00AA8144
	v_cndmask_b32_e64 v254, v68, v65, s[78:79]                 // 000000013C7C: D10000FE 013A8344
	v_cndmask_b32_e64 v253, v69, v66, s[42:43]                 // 000000013C84: D10000FD 00AA8545
	v_cndmask_b32_e64 v255, v69, v67, s[78:79]                 // 000000013C8C: D10000FF 013A8745
	v_mul_f32_e32 v144, v20, v144                              // 000000013C94: 0B212114
	v_mul_f32_e32 v145, v20, v145                              // 000000013C98: 0B232314
	v_mul_f32_e32 v146, v20, v146                              // 000000013C9C: 0B252514
	v_mul_f32_e32 v147, v20, v147                              // 000000013CA0: 0B272714
	v_mul_f32_e32 v148, v20, v148                              // 000000013CA4: 0B292914
	v_mul_f32_e32 v149, v20, v149                              // 000000013CA8: 0B2B2B14
	v_mul_f32_e32 v150, v20, v150                              // 000000013CAC: 0B2D2D14
	v_mul_f32_e32 v151, v20, v151                              // 000000013CB0: 0B2F2F14
	v_mul_f32_e32 v152, v20, v152                              // 000000013CB4: 0B313114
	v_mul_f32_e32 v153, v20, v153                              // 000000013CB8: 0B333314
	v_mul_f32_e32 v154, v20, v154                              // 000000013CBC: 0B353514
	v_mul_f32_e32 v155, v20, v155                              // 000000013CC0: 0B373714
	v_mul_f32_e32 v156, v20, v156                              // 000000013CC4: 0B393914
	v_mul_f32_e32 v157, v20, v157                              // 000000013CC8: 0B3B3B14
	v_mul_f32_e32 v158, v20, v158                              // 000000013CCC: 0B3D3D14
	v_mul_f32_e32 v159, v20, v159                              // 000000013CD0: 0B3F3F14
	v_mul_f32_dpp v144, v248, v144 quad_perm:[0,0,0,0] row_mask:0xf bank_mask:0xf// 000000013CD4: 0B2120FA FF0000F8
	v_mul_f32_dpp v145, v248, v145 quad_perm:[1,1,1,1] row_mask:0xf bank_mask:0xf// 000000013CDC: 0B2322FA FF0055F8
	v_mul_f32_dpp v146, v248, v146 quad_perm:[2,2,2,2] row_mask:0xf bank_mask:0xf// 000000013CE4: 0B2524FA FF00AAF8
	v_mul_f32_dpp v147, v248, v147 quad_perm:[3,3,3,3] row_mask:0xf bank_mask:0xf// 000000013CEC: 0B2726FA FF00FFF8
	v_mul_f32_dpp v148, v249, v148 quad_perm:[0,0,0,0] row_mask:0xf bank_mask:0xf// 000000013CF4: 0B2928FA FF0000F9
	v_mul_f32_dpp v149, v249, v149 quad_perm:[1,1,1,1] row_mask:0xf bank_mask:0xf// 000000013CFC: 0B2B2AFA FF0055F9
	v_mul_f32_dpp v150, v249, v150 quad_perm:[2,2,2,2] row_mask:0xf bank_mask:0xf// 000000013D04: 0B2D2CFA FF00AAF9
	v_mul_f32_dpp v151, v249, v151 quad_perm:[3,3,3,3] row_mask:0xf bank_mask:0xf// 000000013D0C: 0B2F2EFA FF00FFF9
	v_mul_f32_dpp v152, v250, v152 quad_perm:[0,0,0,0] row_mask:0xf bank_mask:0xf// 000000013D14: 0B3130FA FF0000FA
	v_mul_f32_dpp v153, v250, v153 quad_perm:[1,1,1,1] row_mask:0xf bank_mask:0xf// 000000013D1C: 0B3332FA FF0055FA
	v_mul_f32_dpp v154, v250, v154 quad_perm:[2,2,2,2] row_mask:0xf bank_mask:0xf// 000000013D24: 0B3534FA FF00AAFA
	v_mul_f32_dpp v155, v250, v155 quad_perm:[3,3,3,3] row_mask:0xf bank_mask:0xf// 000000013D2C: 0B3736FA FF00FFFA
	v_mul_f32_dpp v156, v251, v156 quad_perm:[0,0,0,0] row_mask:0xf bank_mask:0xf// 000000013D34: 0B3938FA FF0000FB
	v_mul_f32_dpp v157, v251, v157 quad_perm:[1,1,1,1] row_mask:0xf bank_mask:0xf// 000000013D3C: 0B3B3AFA FF0055FB
	v_mul_f32_dpp v158, v251, v158 quad_perm:[2,2,2,2] row_mask:0xf bank_mask:0xf// 000000013D44: 0B3D3CFA FF00AAFB
	v_mul_f32_dpp v159, v251, v159 quad_perm:[3,3,3,3] row_mask:0xf bank_mask:0xf// 000000013D4C: 0B3F3EFA FF00FFFB
	s_cmp_le_i32 s90, s89                                      // 000000013D54: BF05595A
	s_cbranch_scc1 label_4748                                  // 000000013D58: BF850071
	v_mov_b32_e32 v66, 0xff800000                              // 000000013D5C: 7E8402FF FF800000
	s_mov_b32 s60, s90                                         // 000000013D64: BEBC005A
	s_add_u32 s61, s89, 0xff                                   // 000000013D68: 803DFF59 000000FF
	v_mov_b32_e32 v64, s61                                     // 000000013D70: 7E80023D
	v_lshrrev_b32_e32 v240, 4, v0                              // 000000013D74: 21E00084
	v_mul_i32_i24_e32 v240, 4, v240                            // 000000013D78: 0DE1E084
	v_add_u32_e32 v240, s60, v240                              // 000000013D7C: 69E1E03C
	s_mov_b32 s61, 2                                           // 000000013D80: BEBD0082
	s_mul_i32 s60, 16, s7                                      // 000000013D84: 923C0790
	v_sub_u32_e64 v240, v240, s61                              // 000000013D88: D13500F0 00007BF0
	v_add_u32_e32 v240, s60, v240                              // 000000013D90: 69E1E03C
	v_add_u32_e32 v241, 1, v240                                // 000000013D94: 69E3E081
	v_add_u32_e32 v242, 2, v240                                // 000000013D98: 69E5E082
	v_add_u32_e32 v243, 3, v240                                // 000000013D9C: 69E7E083
	v_cmp_le_u32_e64 s[40:41], v240, v64                       // 000000013DA0: D0CB0028 000281F0
	v_add_u32_e32 v240, 64, v240                               // 000000013DA8: 69E1E0C0
	s_nop 0                                                    // 000000013DAC: BF800000
	v_cndmask_b32_e64 v144, v66, v144, s[40:41]                // 000000013DB0: D1000090 00A32142
	v_cmp_le_u32_e64 s[40:41], v241, v64                       // 000000013DB8: D0CB0028 000281F1
	v_add_u32_e32 v241, 64, v241                               // 000000013DC0: 69E3E2C0
	s_nop 0                                                    // 000000013DC4: BF800000
	v_cndmask_b32_e64 v145, v66, v145, s[40:41]                // 000000013DC8: D1000091 00A32342
	v_cmp_le_u32_e64 s[40:41], v242, v64                       // 000000013DD0: D0CB0028 000281F2
	v_add_u32_e32 v242, 64, v242                               // 000000013DD8: 69E5E4C0
	s_nop 0                                                    // 000000013DDC: BF800000
	v_cndmask_b32_e64 v146, v66, v146, s[40:41]                // 000000013DE0: D1000092 00A32542
	v_cmp_le_u32_e64 s[40:41], v243, v64                       // 000000013DE8: D0CB0028 000281F3
	v_add_u32_e32 v243, 64, v243                               // 000000013DF0: 69E7E6C0
	s_nop 0                                                    // 000000013DF4: BF800000
	v_cndmask_b32_e64 v147, v66, v147, s[40:41]                // 000000013DF8: D1000093 00A32742
	v_cmp_le_u32_e64 s[40:41], v240, v64                       // 000000013E00: D0CB0028 000281F0
	v_add_u32_e32 v240, 64, v240                               // 000000013E08: 69E1E0C0
	s_nop 0                                                    // 000000013E0C: BF800000
	v_cndmask_b32_e64 v148, v66, v148, s[40:41]                // 000000013E10: D1000094 00A32942
	v_cmp_le_u32_e64 s[40:41], v241, v64                       // 000000013E18: D0CB0028 000281F1
	v_add_u32_e32 v241, 64, v241                               // 000000013E20: 69E3E2C0
	s_nop 0                                                    // 000000013E24: BF800000
	v_cndmask_b32_e64 v149, v66, v149, s[40:41]                // 000000013E28: D1000095 00A32B42
	v_cmp_le_u32_e64 s[40:41], v242, v64                       // 000000013E30: D0CB0028 000281F2
	v_add_u32_e32 v242, 64, v242                               // 000000013E38: 69E5E4C0
	s_nop 0                                                    // 000000013E3C: BF800000
	v_cndmask_b32_e64 v150, v66, v150, s[40:41]                // 000000013E40: D1000096 00A32D42
	v_cmp_le_u32_e64 s[40:41], v243, v64                       // 000000013E48: D0CB0028 000281F3
	v_add_u32_e32 v243, 64, v243                               // 000000013E50: 69E7E6C0
	s_nop 0                                                    // 000000013E54: BF800000
	v_cndmask_b32_e64 v151, v66, v151, s[40:41]                // 000000013E58: D1000097 00A32F42
	v_cmp_le_u32_e64 s[40:41], v240, v64                       // 000000013E60: D0CB0028 000281F0
	v_add_u32_e32 v240, 64, v240                               // 000000013E68: 69E1E0C0
	s_nop 0                                                    // 000000013E6C: BF800000
	v_cndmask_b32_e64 v152, v66, v152, s[40:41]                // 000000013E70: D1000098 00A33142
	v_cmp_le_u32_e64 s[40:41], v241, v64                       // 000000013E78: D0CB0028 000281F1
	v_add_u32_e32 v241, 64, v241                               // 000000013E80: 69E3E2C0
	s_nop 0                                                    // 000000013E84: BF800000
	v_cndmask_b32_e64 v153, v66, v153, s[40:41]                // 000000013E88: D1000099 00A33342
	v_cmp_le_u32_e64 s[40:41], v242, v64                       // 000000013E90: D0CB0028 000281F2
	v_add_u32_e32 v242, 64, v242                               // 000000013E98: 69E5E4C0
	s_nop 0                                                    // 000000013E9C: BF800000
	v_cndmask_b32_e64 v154, v66, v154, s[40:41]                // 000000013EA0: D100009A 00A33542
	v_cmp_le_u32_e64 s[40:41], v243, v64                       // 000000013EA8: D0CB0028 000281F3
	v_add_u32_e32 v243, 64, v243                               // 000000013EB0: 69E7E6C0
	s_nop 0                                                    // 000000013EB4: BF800000
	v_cndmask_b32_e64 v155, v66, v155, s[40:41]                // 000000013EB8: D100009B 00A33742
	v_cmp_le_u32_e64 s[40:41], v240, v64                       // 000000013EC0: D0CB0028 000281F0
	v_add_u32_e32 v240, 64, v240                               // 000000013EC8: 69E1E0C0
	s_nop 0                                                    // 000000013ECC: BF800000
	v_cndmask_b32_e64 v156, v66, v156, s[40:41]                // 000000013ED0: D100009C 00A33942
	v_cmp_le_u32_e64 s[40:41], v241, v64                       // 000000013ED8: D0CB0028 000281F1
	v_add_u32_e32 v241, 64, v241                               // 000000013EE0: 69E3E2C0
	s_nop 0                                                    // 000000013EE4: BF800000
	v_cndmask_b32_e64 v157, v66, v157, s[40:41]                // 000000013EE8: D100009D 00A33B42
	v_cmp_le_u32_e64 s[40:41], v242, v64                       // 000000013EF0: D0CB0028 000281F2
	v_add_u32_e32 v242, 64, v242                               // 000000013EF8: 69E5E4C0
	s_nop 0                                                    // 000000013EFC: BF800000
	v_cndmask_b32_e64 v158, v66, v158, s[40:41]                // 000000013F00: D100009E 00A33D42
	v_cmp_le_u32_e64 s[40:41], v243, v64                       // 000000013F08: D0CB0028 000281F3
	v_add_u32_e32 v243, 64, v243                               // 000000013F10: 69E7E6C0
	s_nop 0                                                    // 000000013F14: BF800000
	v_cndmask_b32_e64 v159, v66, v159, s[40:41]                // 000000013F18: D100009F 00A33F42

0000000000013f20 <label_4748>:
	s_add_u32 s90, s91, s90                                    // 000000013F20: 805A5A5B
	v_mov_b32_e32 v48, v144                                    // 000000013F24: 7E600390
	v_max3_f32 v48, v144, v145, v48                            // 000000013F28: D1D30030 04C32390
	v_max3_f32 v48, v146, v147, v48                            // 000000013F30: D1D30030 04C32792
	v_max3_f32 v48, v148, v149, v48                            // 000000013F38: D1D30030 04C32B94
	v_max3_f32 v48, v150, v151, v48                            // 000000013F40: D1D30030 04C32F96
	v_max3_f32 v48, v152, v153, v48                            // 000000013F48: D1D30030 04C33398
	v_max3_f32 v48, v154, v155, v48                            // 000000013F50: D1D30030 04C3379A
	v_max3_f32 v48, v156, v157, v48                            // 000000013F58: D1D30030 04C33B9C
	v_max3_f32 v48, v158, v159, v48                            // 000000013F60: D1D30030 04C33F9E
	ds_write_b32 v8, v48 offset:16896                          // 000000013F68: D81A4200 00003008
	v_mul_f32_e32 v224, v51, v224                              // 000000013F70: 0BC1C133
	v_mul_f32_e32 v225, v51, v225                              // 000000013F74: 0BC3C333
	v_mul_f32_e32 v226, v51, v226                              // 000000013F78: 0BC5C533
	v_mul_f32_e32 v227, v51, v227                              // 000000013F7C: 0BC7C733
	v_mul_f32_e32 v228, v51, v228                              // 000000013F80: 0BC9C933
	v_mul_f32_e32 v229, v51, v229                              // 000000013F84: 0BCBCB33
	v_mul_f32_e32 v230, v51, v230                              // 000000013F88: 0BCDCD33
	v_mul_f32_e32 v231, v51, v231                              // 000000013F8C: 0BCFCF33
	s_waitcnt lgkmcnt(0)                                       // 000000013F90: BF8CC07F
	s_barrier                                                  // 000000013F94: BF8A0000
	ds_read_b32 v64, v7 offset:16896                           // 000000013F98: D86C4200 40000007
	ds_read_b32 v65, v7 offset:16960                           // 000000013FA0: D86C4240 41000007
	ds_read_b32 v66, v7 offset:17024                           // 000000013FA8: D86C4280 42000007
	ds_read_b32 v67, v7 offset:17088                           // 000000013FB0: D86C42C0 43000007
	ds_read_b32 v68, v7 offset:17152                           // 000000013FB8: D86C4300 44000007
	ds_read_b32 v69, v7 offset:17216                           // 000000013FC0: D86C4340 45000007
	ds_read_b32 v70, v7 offset:17280                           // 000000013FC8: D86C4380 46000007
	ds_read_b32 v71, v7 offset:17344                           // 000000013FD0: D86C43C0 47000007
	ds_read_b32 v72, v7 offset:17408                           // 000000013FD8: D86C4400 48000007
	ds_read_b32 v73, v7 offset:17472                           // 000000013FE0: D86C4440 49000007
	ds_read_b32 v74, v7 offset:17536                           // 000000013FE8: D86C4480 4A000007
	ds_read_b32 v75, v7 offset:17600                           // 000000013FF0: D86C44C0 4B000007
	ds_read_b32 v76, v7 offset:17664                           // 000000013FF8: D86C4500 4C000007
	ds_read_b32 v77, v7 offset:17728                           // 000000014000: D86C4540 4D000007
	ds_read_b32 v78, v7 offset:17792                           // 000000014008: D86C4580 4E000007
	ds_read_b32 v79, v7 offset:17856                           // 000000014010: D86C45C0 4F000007
	v_mul_f32_e32 v192, v46, v192                              // 000000014018: 0B81812E
	v_mul_f32_e32 v193, v46, v193                              // 00000001401C: 0B83832E
	v_mul_f32_e32 v194, v46, v194                              // 000000014020: 0B85852E
	v_mul_f32_e32 v195, v46, v195                              // 000000014024: 0B87872E
	v_mul_f32_e32 v196, v46, v196                              // 000000014028: 0B89892E
	v_mul_f32_e32 v197, v46, v197                              // 00000001402C: 0B8B8B2E
	v_mul_f32_e32 v198, v46, v198                              // 000000014030: 0B8D8D2E
	v_mul_f32_e32 v199, v46, v199                              // 000000014034: 0B8F8F2E
	s_waitcnt lgkmcnt(0)                                       // 000000014038: BF8CC07F
	v_max3_f32 v48, v64, v65, v48                              // 00000001403C: D1D30030 04C28340
	v_max3_f32 v48, v66, v67, v48                              // 000000014044: D1D30030 04C28742
	v_max3_f32 v48, v68, v69, v48                              // 00000001404C: D1D30030 04C28B44
	v_max3_f32 v48, v70, v71, v48                              // 000000014054: D1D30030 04C28F46
	v_max3_f32 v48, v72, v73, v48                              // 00000001405C: D1D30030 04C29348
	v_max3_f32 v48, v74, v75, v48                              // 000000014064: D1D30030 04C2974A
	v_max3_f32 v48, v76, v77, v48                              // 00000001406C: D1D30030 04C29B4C
	v_max3_f32 v48, v78, v79, v48                              // 000000014074: D1D30030 04C29F4E
	v_mov_b32_e32 v64, 0xff800000                              // 00000001407C: 7E8002FF FF800000
	v_cmp_eq_u32_e64 s[40:41], v64, v13                        // 000000014084: D0CA0028 00021B40
	s_nop 1                                                    // 00000001408C: BF800001
	v_max_f32_e32 v15, v48, v13                                // 000000014090: 161E1B30
	v_mul_f32_e32 v53, s64, v15                                // 000000014094: 0A6A1E40
	v_fma_f32 v144, v144, s64, -v53                            // 000000014098: D1CB0090 84D48190
	v_fma_f32 v145, v145, s64, -v53                            // 0000000140A0: D1CB0091 84D48191
	v_fma_f32 v146, v146, s64, -v53                            // 0000000140A8: D1CB0092 84D48192
	v_fma_f32 v147, v147, s64, -v53                            // 0000000140B0: D1CB0093 84D48193
	v_fma_f32 v148, v148, s64, -v53                            // 0000000140B8: D1CB0094 84D48194
	v_fma_f32 v149, v149, s64, -v53                            // 0000000140C0: D1CB0095 84D48195
	v_fma_f32 v150, v150, s64, -v53                            // 0000000140C8: D1CB0096 84D48196
	v_fma_f32 v151, v151, s64, -v53                            // 0000000140D0: D1CB0097 84D48197
	v_fma_f32 v152, v152, s64, -v53                            // 0000000140D8: D1CB0098 84D48198
	v_fma_f32 v153, v153, s64, -v53                            // 0000000140E0: D1CB0099 84D48199
	v_fma_f32 v154, v154, s64, -v53                            // 0000000140E8: D1CB009A 84D4819A
	v_fma_f32 v155, v155, s64, -v53                            // 0000000140F0: D1CB009B 84D4819B
	v_fma_f32 v156, v156, s64, -v53                            // 0000000140F8: D1CB009C 84D4819C
	v_fma_f32 v157, v157, s64, -v53                            // 000000014100: D1CB009D 84D4819D
	v_fma_f32 v158, v158, s64, -v53                            // 000000014108: D1CB009E 84D4819E
	v_fma_f32 v159, v159, s64, -v53                            // 000000014110: D1CB009F 84D4819F
	v_exp_f32_e32 v144, v144                                   // 000000014118: 7F204190
	v_exp_f32_e32 v145, v145                                   // 00000001411C: 7F224191
	v_exp_f32_e32 v146, v146                                   // 000000014120: 7F244192
	v_exp_f32_e32 v147, v147                                   // 000000014124: 7F264193
	v_exp_f32_e32 v148, v148                                   // 000000014128: 7F284194
	v_exp_f32_e32 v149, v149                                   // 00000001412C: 7F2A4195
	v_exp_f32_e32 v150, v150                                   // 000000014130: 7F2C4196
	v_exp_f32_e32 v151, v151                                   // 000000014134: 7F2E4197
	v_exp_f32_e32 v152, v152                                   // 000000014138: 7F304198
	v_exp_f32_e32 v153, v153                                   // 00000001413C: 7F324199
	v_exp_f32_e32 v154, v154                                   // 000000014140: 7F34419A
	v_exp_f32_e32 v155, v155                                   // 000000014144: 7F36419B
	v_exp_f32_e32 v156, v156                                   // 000000014148: 7F38419C
	v_exp_f32_e32 v157, v157                                   // 00000001414C: 7F3A419D
	v_exp_f32_e32 v158, v158                                   // 000000014150: 7F3C419E
	v_exp_f32_e32 v159, v159                                   // 000000014154: 7F3E419F
	v_mul_f32_dpp v240, v252, v144 quad_perm:[0,0,0,0] row_mask:0xf bank_mask:0xf// 000000014158: 0BE120FA FF0000FC
	v_mul_f32_dpp v241, v252, v145 quad_perm:[1,1,1,1] row_mask:0xf bank_mask:0xf// 000000014160: 0BE322FA FF0055FC
	v_mul_f32_dpp v242, v252, v146 quad_perm:[2,2,2,2] row_mask:0xf bank_mask:0xf// 000000014168: 0BE524FA FF00AAFC
	v_mul_f32_dpp v243, v252, v147 quad_perm:[3,3,3,3] row_mask:0xf bank_mask:0xf// 000000014170: 0BE726FA FF00FFFC
	v_mul_f32_dpp v244, v253, v148 quad_perm:[0,0,0,0] row_mask:0xf bank_mask:0xf// 000000014178: 0BE928FA FF0000FD
	v_mul_f32_dpp v245, v253, v149 quad_perm:[1,1,1,1] row_mask:0xf bank_mask:0xf// 000000014180: 0BEB2AFA FF0055FD
	v_mul_f32_dpp v246, v253, v150 quad_perm:[2,2,2,2] row_mask:0xf bank_mask:0xf// 000000014188: 0BED2CFA FF00AAFD
	v_mul_f32_dpp v247, v253, v151 quad_perm:[3,3,3,3] row_mask:0xf bank_mask:0xf// 000000014190: 0BEF2EFA FF00FFFD
	v_mul_f32_dpp v248, v254, v152 quad_perm:[0,0,0,0] row_mask:0xf bank_mask:0xf// 000000014198: 0BF130FA FF0000FE
	v_mul_f32_dpp v249, v254, v153 quad_perm:[1,1,1,1] row_mask:0xf bank_mask:0xf// 0000000141A0: 0BF332FA FF0055FE
	v_mul_f32_dpp v250, v254, v154 quad_perm:[2,2,2,2] row_mask:0xf bank_mask:0xf// 0000000141A8: 0BF534FA FF00AAFE
	v_mul_f32_dpp v251, v254, v155 quad_perm:[3,3,3,3] row_mask:0xf bank_mask:0xf// 0000000141B0: 0BF736FA FF00FFFE
	v_mul_f32_dpp v252, v255, v156 quad_perm:[0,0,0,0] row_mask:0xf bank_mask:0xf// 0000000141B8: 0BF938FA FF0000FF
	v_mul_f32_dpp v253, v255, v157 quad_perm:[1,1,1,1] row_mask:0xf bank_mask:0xf// 0000000141C0: 0BFB3AFA FF0055FF
	v_mul_f32_dpp v254, v255, v158 quad_perm:[2,2,2,2] row_mask:0xf bank_mask:0xf// 0000000141C8: 0BFD3CFA FF00AAFF
	v_mul_f32_dpp v255, v255, v159 quad_perm:[3,3,3,3] row_mask:0xf bank_mask:0xf// 0000000141D0: 0BFF3EFA FF00FFFF
	v_mov_b32_e32 v48, 0x358637bd                              // 0000000141D8: 7E6002FF 358637BD
	v_max3_f32 v48, |v240|, |v241|, v48                        // 0000000141E0: D1D30330 04C3E3F0
	v_max3_f32 v48, |v242|, |v243|, v48                        // 0000000141E8: D1D30330 04C3E7F2
	v_max3_f32 v48, |v244|, |v245|, v48                        // 0000000141F0: D1D30330 04C3EBF4
	v_max3_f32 v48, |v246|, |v247|, v48                        // 0000000141F8: D1D30330 04C3EFF6
	v_max3_f32 v48, |v248|, |v249|, v48                        // 000000014200: D1D30330 04C3F3F8
	v_max3_f32 v48, |v250|, |v251|, v48                        // 000000014208: D1D30330 04C3F7FA
	v_max3_f32 v48, |v252|, |v253|, v48                        // 000000014210: D1D30330 04C3FBFC
	v_max3_f32 v48, |v254|, |v255|, v48                        // 000000014218: D1D30330 04C3FFFE
	ds_write_b32 v8, v48 offset:20992                          // 000000014220: D81A5200 00003008
	v_sub_f32_e32 v51, v13, v15                                // 000000014228: 04661F0D
	v_cndmask_b32_e64 v51, v51, 0, s[40:41]                    // 00000001422C: D1000033 00A10133
	v_mov_b32_e32 v13, v15                                     // 000000014234: 7E1A030F
	v_mul_f32_e32 v51, s64, v51                                // 000000014238: 0A666640
	v_exp_f32_e32 v51, v51                                     // 00000001423C: 7E664133
	s_waitcnt lgkmcnt(0)                                       // 000000014240: BF8CC07F
	s_barrier                                                  // 000000014244: BF8A0000
	ds_read_b32 v64, v7 offset:20992                           // 000000014248: D86C5200 40000007
	ds_read_b32 v65, v7 offset:21056                           // 000000014250: D86C5240 41000007
	ds_read_b32 v66, v7 offset:21120                           // 000000014258: D86C5280 42000007
	ds_read_b32 v67, v7 offset:21184                           // 000000014260: D86C52C0 43000007
	ds_read_b32 v68, v7 offset:21248                           // 000000014268: D86C5300 44000007
	ds_read_b32 v69, v7 offset:21312                           // 000000014270: D86C5340 45000007
	ds_read_b32 v70, v7 offset:21376                           // 000000014278: D86C5380 46000007
	ds_read_b32 v71, v7 offset:21440                           // 000000014280: D86C53C0 47000007
	ds_read_b32 v72, v7 offset:21504                           // 000000014288: D86C5400 48000007
	ds_read_b32 v73, v7 offset:21568                           // 000000014290: D86C5440 49000007
	ds_read_b32 v74, v7 offset:21632                           // 000000014298: D86C5480 4A000007
	ds_read_b32 v75, v7 offset:21696                           // 0000000142A0: D86C54C0 4B000007
	ds_read_b32 v76, v7 offset:21760                           // 0000000142A8: D86C5500 4C000007
	ds_read_b32 v77, v7 offset:21824                           // 0000000142B0: D86C5540 4D000007
	ds_read_b32 v78, v7 offset:21888                           // 0000000142B8: D86C5580 4E000007
	ds_read_b32 v79, v7 offset:21952                           // 0000000142C0: D86C55C0 4F000007
	v_mul_f32_e32 v40, v51, v40                                // 0000000142C8: 0A505133
	v_mov_b32_e32 v15, v144                                    // 0000000142CC: 7E1E0390
	v_add_f32_e32 v15, v145, v15                               // 0000000142D0: 021E1F91
	v_add_f32_e32 v15, v146, v15                               // 0000000142D4: 021E1F92
	v_add_f32_e32 v15, v147, v15                               // 0000000142D8: 021E1F93
	v_add_f32_e32 v15, v148, v15                               // 0000000142DC: 021E1F94
	v_add_f32_e32 v15, v149, v15                               // 0000000142E0: 021E1F95
	v_add_f32_e32 v15, v150, v15                               // 0000000142E4: 021E1F96
	v_add_f32_e32 v15, v151, v15                               // 0000000142E8: 021E1F97
	v_add_f32_e32 v15, v152, v15                               // 0000000142EC: 021E1F98
	v_add_f32_e32 v15, v153, v15                               // 0000000142F0: 021E1F99
	v_add_f32_e32 v15, v154, v15                               // 0000000142F4: 021E1F9A
	v_add_f32_e32 v15, v155, v15                               // 0000000142F8: 021E1F9B
	v_add_f32_e32 v15, v156, v15                               // 0000000142FC: 021E1F9C
	v_add_f32_e32 v15, v157, v15                               // 000000014300: 021E1F9D
	v_add_f32_e32 v15, v158, v15                               // 000000014304: 021E1F9E
	v_add_f32_e32 v15, v159, v15                               // 000000014308: 021E1F9F
	v_add_f32_e32 v40, v15, v40                                // 00000001430C: 0250510F
	s_waitcnt lgkmcnt(0)                                       // 000000014310: BF8CC07F
	v_max3_f32 v48, |v64|, |v65|, v48                          // 000000014314: D1D30330 04C28340
	v_max3_f32 v48, |v66|, |v67|, v48                          // 00000001431C: D1D30330 04C28742
	v_max3_f32 v48, |v68|, |v69|, v48                          // 000000014324: D1D30330 04C28B44
	v_max3_f32 v48, |v70|, |v71|, v48                          // 00000001432C: D1D30330 04C28F46
	v_max3_f32 v48, |v72|, |v73|, v48                          // 000000014334: D1D30330 04C29348
	v_max3_f32 v48, |v74|, |v75|, v48                          // 00000001433C: D1D30330 04C2974A
	v_max3_f32 v48, |v76|, |v77|, v48                          // 000000014344: D1D30330 04C29B4C
	v_max3_f32 v48, |v78|, |v79|, v48                          // 00000001434C: D1D30330 04C29F4E
	s_nop 2                                                    // 000000014354: BF800002
	v_rcp_f32_e32 v48, v48                                     // 000000014358: 7E604530
	s_nop 1                                                    // 00000001435C: BF800001
	v_mul_f32_e32 v48, 0x43700000, v48                         // 000000014360: 0A6060FF 43700000
	v_mul_f32_e32 v144, v48, v240                              // 000000014368: 0B21E130
	v_mul_f32_e32 v145, v48, v241                              // 00000001436C: 0B23E330
	v_mul_f32_e32 v146, v48, v242                              // 000000014370: 0B25E530
	v_mul_f32_e32 v147, v48, v243                              // 000000014374: 0B27E730
	v_mul_f32_e32 v148, v48, v244                              // 000000014378: 0B29E930
	v_mul_f32_e32 v149, v48, v245                              // 00000001437C: 0B2BEB30
	v_mul_f32_e32 v150, v48, v246                              // 000000014380: 0B2DED30
	v_mul_f32_e32 v151, v48, v247                              // 000000014384: 0B2FEF30
	v_mul_f32_e32 v152, v48, v248                              // 000000014388: 0B31F130
	v_mul_f32_e32 v153, v48, v249                              // 00000001438C: 0B33F330
	v_mul_f32_e32 v154, v48, v250                              // 000000014390: 0B35F530
	v_mul_f32_e32 v155, v48, v251                              // 000000014394: 0B37F730
	v_mul_f32_e32 v156, v48, v252                              // 000000014398: 0B39F930
	v_mul_f32_e32 v157, v48, v253                              // 00000001439C: 0B3BFB30
	v_mul_f32_e32 v158, v48, v254                              // 0000000143A0: 0B3DFD30
	v_mul_f32_e32 v159, v48, v255                              // 0000000143A4: 0B3FFF30
	v_cvt_pk_fp8_f32 v144, v144, v145                          // 0000000143A8: D2A20090 00032390
	v_cvt_pk_fp8_f32 v144, v146, v147 op_sel:[0,0,1]           // 0000000143B0: D2A24090 00032792
	v_cvt_pk_fp8_f32 v145, v148, v149                          // 0000000143B8: D2A20091 00032B94
	v_cvt_pk_fp8_f32 v145, v150, v151 op_sel:[0,0,1]           // 0000000143C0: D2A24091 00032F96
	v_cvt_pk_fp8_f32 v146, v152, v153                          // 0000000143C8: D2A20092 00033398
	v_cvt_pk_fp8_f32 v146, v154, v155 op_sel:[0,0,1]           // 0000000143D0: D2A24092 0003379A
	v_cvt_pk_fp8_f32 v147, v156, v157                          // 0000000143D8: D2A20093 00033B9C
	v_cvt_pk_fp8_f32 v147, v158, v159 op_sel:[0,0,1]           // 0000000143E0: D2A24093 00033F9E
	ds_write_b32 v10, v144 offset:33280                        // 0000000143E8: D81A8200 0000900A
	ds_write_b32 v10, v145 offset:34304                        // 0000000143F0: D81A8600 0000910A
	ds_write_b32 v10, v146 offset:35328                        // 0000000143F8: D81A8A00 0000920A
	ds_write_b32 v10, v147 offset:36352                        // 000000014400: D81A8E00 0000930A
	v_add_f32_e32 v224, v224, v192                             // 000000014408: 03C181E0
	v_add_f32_e32 v225, v225, v193                             // 00000001440C: 03C383E1
	v_add_f32_e32 v226, v226, v194                             // 000000014410: 03C585E2
	v_add_f32_e32 v227, v227, v195                             // 000000014414: 03C787E3
	v_add_f32_e32 v228, v228, v196                             // 000000014418: 03C989E4
	v_add_f32_e32 v229, v229, v197                             // 00000001441C: 03CB8BE5
	v_add_f32_e32 v230, v230, v198                             // 000000014420: 03CD8DE6
	v_add_f32_e32 v231, v231, v199                             // 000000014424: 03CF8FE7
	v_rcp_f32_e32 v46, v48                                     // 000000014428: 7E5C4530
	s_waitcnt lgkmcnt(0)                                       // 00000001442C: BF8CC07F
	s_barrier                                                  // 000000014430: BF8A0000
	ds_read_b64 v[144:145], v9 offset:33280                    // 000000014434: D8EC8200 90000009
	ds_read_b64 v[146:147], v9 offset:33408                    // 00000001443C: D8EC8280 92000009
	ds_read_b64 v[148:149], v9 offset:34304                    // 000000014444: D8EC8600 94000009
	ds_read_b64 v[150:151], v9 offset:34432                    // 00000001444C: D8EC8680 96000009
	ds_read_b64 v[152:153], v9 offset:35328                    // 000000014454: D8EC8A00 98000009
	ds_read_b64 v[154:155], v9 offset:35456                    // 00000001445C: D8EC8A80 9A000009
	ds_read_b64 v[156:157], v9 offset:36352                    // 000000014464: D8EC8E00 9C000009
	ds_read_b64 v[158:159], v9 offset:36480                    // 00000001446C: D8EC8E80 9E000009
	s_waitcnt vmcnt(15)                                        // 000000014474: BF8C0F7F
	v_mfma_f32_16x16x32_fp8_fp8 v[176:179], a[96:97], v[112:113], 0// 000000014478: D3F300B0 0A02E160
	v_mfma_f32_16x16x32_fp8_fp8 v[176:179], a[98:99], v[114:115], v[176:179]// 000000014480: D3F300B0 0EC2E562
	buffer_load_dwordx4 a[80:83], v30, s[20:23], 0 offen offset:1024// 000000014488: E05C1400 8085501E
	v_mfma_f32_16x16x32_fp8_fp8 v[176:179], a[100:101], v[116:117], v[176:179]// 000000014490: D3F300B0 0EC2E964
	v_mfma_f32_16x16x32_fp8_fp8 v[176:179], a[102:103], v[118:119], v[176:179]// 000000014498: D3F300B0 0EC2ED66
	v_mfma_f32_16x16x32_fp8_fp8 v[176:179], a[104:105], v[120:121], v[176:179]// 0000000144A0: D3F300B0 0EC2F168
	v_mfma_f32_16x16x32_fp8_fp8 v[176:179], a[106:107], v[122:123], v[176:179]// 0000000144A8: D3F300B0 0EC2F56A
	buffer_load_dwordx4 a[84:87], v31, s[20:23], 0 offen offset:1024// 0000000144B0: E05C1400 8085541F
	v_mfma_f32_16x16x32_fp8_fp8 v[176:179], a[108:109], v[124:125], v[176:179]// 0000000144B8: D3F300B0 0EC2F96C
	v_mfma_f32_16x16x32_fp8_fp8 v[176:179], a[110:111], v[126:127], v[176:179]// 0000000144C0: D3F300B0 0EC2FD6E
	v_mfma_f32_16x16x32_fp8_fp8 v[180:183], a[112:113], v[112:113], 0// 0000000144C8: D3F300B4 0A02E170
	v_mfma_f32_16x16x32_fp8_fp8 v[180:183], a[114:115], v[114:115], v[180:183]// 0000000144D0: D3F300B4 0ED2E572
	buffer_load_dwordx4 a[88:91], v32, s[20:23], 0 offen offset:1024// 0000000144D8: E05C1400 80855820
	v_mfma_f32_16x16x32_fp8_fp8 v[180:183], a[116:117], v[116:117], v[180:183]// 0000000144E0: D3F300B4 0ED2E974
	v_mfma_f32_16x16x32_fp8_fp8 v[180:183], a[118:119], v[118:119], v[180:183]// 0000000144E8: D3F300B4 0ED2ED76
	v_mfma_f32_16x16x32_fp8_fp8 v[180:183], a[120:121], v[120:121], v[180:183]// 0000000144F0: D3F300B4 0ED2F178
	v_mfma_f32_16x16x32_fp8_fp8 v[180:183], a[122:123], v[122:123], v[180:183]// 0000000144F8: D3F300B4 0ED2F57A
	buffer_load_dwordx4 a[92:95], v33, s[20:23], 0 offen offset:1024// 000000014500: E05C1400 80855C21
	v_mfma_f32_16x16x32_fp8_fp8 v[180:183], a[124:125], v[124:125], v[180:183]// 000000014508: D3F300B4 0ED2F97C
	s_lshr_b32 s57, s70, 4                                     // 000000014510: 8F398446
	s_add_u32 s57, 48, s57                                     // 000000014514: 803939B0
	v_mfma_f32_16x16x32_fp8_fp8 v[180:183], a[126:127], v[126:127], v[180:183]// 000000014518: D3F300B4 0ED2FD7E
	s_cmp_ge_u32 s57, s73                                      // 000000014520: BF094939
	s_cselect_b32 s56, 0, s56                                  // 000000014524: 85383880
	v_mfma_f32_16x16x32_fp8_fp8 v[184:187], a[96:97], v[128:129], 0// 000000014528: D3F300B8 0A030160
	v_mfma_f32_16x16x32_fp8_fp8 v[184:187], a[98:99], v[130:131], v[184:187]// 000000014530: D3F300B8 0EE30562
	v_mfma_f32_16x16x32_fp8_fp8 v[184:187], a[100:101], v[132:133], v[184:187]// 000000014538: D3F300B8 0EE30964
	v_mfma_f32_16x16x32_fp8_fp8 v[184:187], a[102:103], v[134:135], v[184:187]// 000000014540: D3F300B8 0EE30D66
	v_mfma_f32_16x16x32_fp8_fp8 v[184:187], a[104:105], v[136:137], v[184:187]// 000000014548: D3F300B8 0EE31168
	v_mfma_f32_16x16x32_fp8_fp8 v[184:187], a[106:107], v[138:139], v[184:187]// 000000014550: D3F300B8 0EE3156A
	v_mfma_f32_16x16x32_fp8_fp8 v[184:187], a[108:109], v[140:141], v[184:187]// 000000014558: D3F300B8 0EE3196C
	v_mfma_f32_16x16x32_fp8_fp8 v[184:187], a[110:111], v[142:143], v[184:187]// 000000014560: D3F300B8 0EE31D6E
	v_mfma_f32_16x16x32_fp8_fp8 v[188:191], a[112:113], v[128:129], 0// 000000014568: D3F300BC 0A030170
	v_mfma_f32_16x16x32_fp8_fp8 v[188:191], a[114:115], v[130:131], v[188:191]// 000000014570: D3F300BC 0EF30572
	v_mfma_f32_16x16x32_fp8_fp8 v[188:191], a[116:117], v[132:133], v[188:191]// 000000014578: D3F300BC 0EF30974
	v_mfma_f32_16x16x32_fp8_fp8 v[188:191], a[118:119], v[134:135], v[188:191]// 000000014580: D3F300BC 0EF30D76
	v_mfma_f32_16x16x32_fp8_fp8 v[188:191], a[120:121], v[136:137], v[188:191]// 000000014588: D3F300BC 0EF31178
	v_mfma_f32_16x16x32_fp8_fp8 v[188:191], a[122:123], v[138:139], v[188:191]// 000000014590: D3F300BC 0EF3157A
	v_mfma_f32_16x16x32_fp8_fp8 v[188:191], a[124:125], v[140:141], v[188:191]// 000000014598: D3F300BC 0EF3197C
	v_mfma_f32_16x16x32_fp8_fp8 v[188:191], a[126:127], v[142:143], v[188:191]// 0000000145A0: D3F300BC 0EF31D7E
	v_mfma_f32_16x16x32_fp8_fp8 v[192:195], a[96:97], v[144:145], 0// 0000000145A8: D3F300C0 0A032160
	v_mfma_f32_16x16x32_fp8_fp8 v[192:195], a[98:99], v[146:147], v[192:195]// 0000000145B0: D3F300C0 0F032562
	v_mfma_f32_16x16x32_fp8_fp8 v[192:195], a[100:101], v[148:149], v[192:195]// 0000000145B8: D3F300C0 0F032964
	v_mfma_f32_16x16x32_fp8_fp8 v[192:195], a[102:103], v[150:151], v[192:195]// 0000000145C0: D3F300C0 0F032D66
	v_mfma_f32_16x16x32_fp8_fp8 v[192:195], a[104:105], v[152:153], v[192:195]// 0000000145C8: D3F300C0 0F033168
	v_mfma_f32_16x16x32_fp8_fp8 v[192:195], a[106:107], v[154:155], v[192:195]// 0000000145D0: D3F300C0 0F03356A
	v_mfma_f32_16x16x32_fp8_fp8 v[192:195], a[108:109], v[156:157], v[192:195]// 0000000145D8: D3F300C0 0F03396C
	v_mfma_f32_16x16x32_fp8_fp8 v[192:195], a[110:111], v[158:159], v[192:195]// 0000000145E0: D3F300C0 0F033D6E
	v_mfma_f32_16x16x32_fp8_fp8 v[196:199], a[112:113], v[144:145], 0// 0000000145E8: D3F300C4 0A032170
	v_mfma_f32_16x16x32_fp8_fp8 v[196:199], a[114:115], v[146:147], v[196:199]// 0000000145F0: D3F300C4 0F132572
	v_mfma_f32_16x16x32_fp8_fp8 v[196:199], a[116:117], v[148:149], v[196:199]// 0000000145F8: D3F300C4 0F132974
	v_mfma_f32_16x16x32_fp8_fp8 v[196:199], a[118:119], v[150:151], v[196:199]// 000000014600: D3F300C4 0F132D76
	v_mfma_f32_16x16x32_fp8_fp8 v[196:199], a[120:121], v[152:153], v[196:199]// 000000014608: D3F300C4 0F133178
	v_mfma_f32_16x16x32_fp8_fp8 v[196:199], a[122:123], v[154:155], v[196:199]// 000000014610: D3F300C4 0F13357A
	v_mfma_f32_16x16x32_fp8_fp8 v[196:199], a[124:125], v[156:157], v[196:199]// 000000014618: D3F300C4 0F13397C
	v_mfma_f32_16x16x32_fp8_fp8 v[196:199], a[126:127], v[158:159], v[196:199]// 000000014620: D3F300C4 0F133D7E
	v_add_u32_e32 v1, s56, v1                                  // 000000014628: 68020238
	s_addk_i32 s70, 0x100                                      // 00000001462C: B7460100
	s_cmp_lt_i32 s70, s71                                      // 000000014630: BF044746
	s_cbranch_scc0 label_490F                                  // 000000014634: BF840001
	s_branch label_39EE                                        // 000000014638: BF82F0DF

000000000001463c <label_490F>:
	s_nop 0                                                    // 00000001463C: BF800000
	s_nop 0                                                    // 000000014640: BF800000
	s_branch label_5833                                        // 000000014644: BF820F21

0000000000014648 <label_4912>:
	s_waitcnt vmcnt(8) lgkmcnt(0)                              // 000000014648: BF8C0078
	v_mul_u32_u24_dpp v64, v17, v54 row_newbcast:0 row_mask:0xf bank_mask:0xf// 00000001464C: 10806CFA FF015011
	v_mul_u32_u24_dpp v65, v17, v54 row_newbcast:4 row_mask:0xf bank_mask:0xf// 000000014654: 10826CFA FF015411
	v_mul_u32_u24_dpp v66, v17, v54 row_newbcast:8 row_mask:0xf bank_mask:0xf// 00000001465C: 10846CFA FF015811
	v_mul_u32_u24_dpp v67, v17, v54 row_newbcast:12 row_mask:0xf bank_mask:0xf// 000000014664: 10866CFA FF015C11
	v_add_u32_e32 v26, v64, v5                                 // 00000001466C: 68340B40
	v_add_u32_e32 v27, v65, v5                                 // 000000014670: 68360B41
	v_add_u32_e32 v28, v66, v5                                 // 000000014674: 68380B42
	v_add_u32_e32 v29, v67, v5                                 // 000000014678: 683A0B43
	v_mul_u32_u24_dpp v64, v17, v63 quad_perm:[0,0,0,0] row_mask:0xf bank_mask:0xf// 00000001467C: 10807EFA FF000011
	v_add_u32_e32 v3, v64, v59                                 // 000000014684: 68067740
	v_mul_u32_u24_dpp v64, v17, v63 quad_perm:[0,0,0,0] row_mask:0xf bank_mask:0xf// 000000014688: 10807EFA FF000011
	v_add_u32_e32 v56, v64, v60                                // 000000014690: 68707940
	v_mfma_f32_16x16x32_fp8_fp8 v[112:115], a[0:1], v[80:81], 0// 000000014694: D3F30070 0A02A100
	buffer_load_dwordx4 a[32:35], v26, s[16:19], 0 offen       // 00000001469C: E05C1000 8084201A
	v_mfma_f32_16x16x32_fp8_fp8 v[112:115], a[2:3], v[82:83], v[112:115]// 0000000146A4: D3F30070 0DC2A502
	v_mfma_f32_16x16x32_fp8_fp8 v[112:115], a[4:5], v[84:85], v[112:115]// 0000000146AC: D3F30070 0DC2A904
	buffer_load_dword v16, v1, s[24:27], 0 offen               // 0000000146B4: E0501000 80061001
	v_mfma_f32_16x16x32_fp8_fp8 v[112:115], a[6:7], v[86:87], v[112:115]// 0000000146BC: D3F30070 0DC2AD06
	v_mfma_f32_16x16x32_fp8_fp8 v[116:119], a[8:9], v[80:81], 0// 0000000146C4: D3F30074 0A02A108
	buffer_load_dwordx4 a[36:39], v26, s[16:19], 0 offen offset:1024// 0000000146CC: E05C1400 8084241A
	v_mfma_f32_16x16x32_fp8_fp8 v[116:119], a[10:11], v[82:83], v[116:119]// 0000000146D4: D3F30074 0DD2A50A
	v_mfma_f32_16x16x32_fp8_fp8 v[116:119], a[12:13], v[84:85], v[116:119]// 0000000146DC: D3F30074 0DD2A90C
	v_mfma_f32_16x16x32_fp8_fp8 v[116:119], a[14:15], v[86:87], v[116:119]// 0000000146E4: D3F30074 0DD2AD0E
	v_mfma_f32_16x16x32_fp8_fp8 v[120:123], a[16:17], v[80:81], 0// 0000000146EC: D3F30078 0A02A110
	buffer_load_dwordx4 a[40:43], v27, s[16:19], 0 offen       // 0000000146F4: E05C1000 8084281B
	v_mfma_f32_16x16x32_fp8_fp8 v[120:123], a[18:19], v[82:83], v[120:123]// 0000000146FC: D3F30078 0DE2A512
	v_mfma_f32_16x16x32_fp8_fp8 v[120:123], a[20:21], v[84:85], v[120:123]// 000000014704: D3F30078 0DE2A914
	v_mfma_f32_16x16x32_fp8_fp8 v[120:123], a[22:23], v[86:87], v[120:123]// 00000001470C: D3F30078 0DE2AD16
	v_mfma_f32_16x16x32_fp8_fp8 v[124:127], a[24:25], v[80:81], 0// 000000014714: D3F3007C 0A02A118
	buffer_load_dwordx4 a[44:47], v27, s[16:19], 0 offen offset:1024// 00000001471C: E05C1400 80842C1B
	v_mfma_f32_16x16x32_fp8_fp8 v[124:127], a[26:27], v[82:83], v[124:127]// 000000014724: D3F3007C 0DF2A51A
	v_mfma_f32_16x16x32_fp8_fp8 v[124:127], a[28:29], v[84:85], v[124:127]// 00000001472C: D3F3007C 0DF2A91C
	v_mfma_f32_16x16x32_fp8_fp8 v[124:127], a[30:31], v[86:87], v[124:127]// 000000014734: D3F3007C 0DF2AD1E
	v_mfma_f32_16x16x32_fp8_fp8 v[128:131], a[0:1], v[88:89], 0// 00000001473C: D3F30080 0A02B100
	v_mfma_f32_16x16x32_fp8_fp8 v[128:131], a[2:3], v[90:91], v[128:131]// 000000014744: D3F30080 0E02B502
	v_mfma_f32_16x16x32_fp8_fp8 v[128:131], a[4:5], v[92:93], v[128:131]// 00000001474C: D3F30080 0E02B904
	v_mfma_f32_16x16x32_fp8_fp8 v[128:131], a[6:7], v[94:95], v[128:131]// 000000014754: D3F30080 0E02BD06
	v_mfma_f32_16x16x32_fp8_fp8 v[132:135], a[8:9], v[88:89], 0// 00000001475C: D3F30084 0A02B108
	v_mfma_f32_16x16x32_fp8_fp8 v[132:135], a[10:11], v[90:91], v[132:135]// 000000014764: D3F30084 0E12B50A
	v_mfma_f32_16x16x32_fp8_fp8 v[132:135], a[12:13], v[92:93], v[132:135]// 00000001476C: D3F30084 0E12B90C
	v_mfma_f32_16x16x32_fp8_fp8 v[132:135], a[14:15], v[94:95], v[132:135]// 000000014774: D3F30084 0E12BD0E
	v_mfma_f32_16x16x32_fp8_fp8 v[136:139], a[16:17], v[88:89], 0// 00000001477C: D3F30088 0A02B110
	v_mfma_f32_16x16x32_fp8_fp8 v[136:139], a[18:19], v[90:91], v[136:139]// 000000014784: D3F30088 0E22B512
	v_mfma_f32_16x16x32_fp8_fp8 v[136:139], a[20:21], v[92:93], v[136:139]// 00000001478C: D3F30088 0E22B914
	v_mfma_f32_16x16x32_fp8_fp8 v[136:139], a[22:23], v[94:95], v[136:139]// 000000014794: D3F30088 0E22BD16
	v_mfma_f32_16x16x32_fp8_fp8 v[140:143], a[24:25], v[88:89], 0// 00000001479C: D3F3008C 0A02B118
	v_mfma_f32_16x16x32_fp8_fp8 v[140:143], a[26:27], v[90:91], v[140:143]// 0000000147A4: D3F3008C 0E32B51A
	v_mfma_f32_16x16x32_fp8_fp8 v[140:143], a[28:29], v[92:93], v[140:143]// 0000000147AC: D3F3008C 0E32B91C
	v_mfma_f32_16x16x32_fp8_fp8 v[140:143], a[30:31], v[94:95], v[140:143]// 0000000147B4: D3F3008C 0E32BD1E
	v_mfma_f32_16x16x32_fp8_fp8 v[144:147], a[0:1], v[96:97], 0// 0000000147BC: D3F30090 0A02C100
	v_mfma_f32_16x16x32_fp8_fp8 v[144:147], a[2:3], v[98:99], v[144:147]// 0000000147C4: D3F30090 0E42C502
	v_mfma_f32_16x16x32_fp8_fp8 v[144:147], a[4:5], v[100:101], v[144:147]// 0000000147CC: D3F30090 0E42C904
	v_mfma_f32_16x16x32_fp8_fp8 v[144:147], a[6:7], v[102:103], v[144:147]// 0000000147D4: D3F30090 0E42CD06
	v_mfma_f32_16x16x32_fp8_fp8 v[148:151], a[8:9], v[96:97], 0// 0000000147DC: D3F30094 0A02C108
	v_mfma_f32_16x16x32_fp8_fp8 v[148:151], a[10:11], v[98:99], v[148:151]// 0000000147E4: D3F30094 0E52C50A
	v_mfma_f32_16x16x32_fp8_fp8 v[148:151], a[12:13], v[100:101], v[148:151]// 0000000147EC: D3F30094 0E52C90C
	v_mfma_f32_16x16x32_fp8_fp8 v[148:151], a[14:15], v[102:103], v[148:151]// 0000000147F4: D3F30094 0E52CD0E
	v_mfma_f32_16x16x32_fp8_fp8 v[152:155], a[16:17], v[96:97], 0// 0000000147FC: D3F30098 0A02C110
	v_mfma_f32_16x16x32_fp8_fp8 v[152:155], a[18:19], v[98:99], v[152:155]// 000000014804: D3F30098 0E62C512
	v_mfma_f32_16x16x32_fp8_fp8 v[152:155], a[20:21], v[100:101], v[152:155]// 00000001480C: D3F30098 0E62C914
	v_mfma_f32_16x16x32_fp8_fp8 v[152:155], a[22:23], v[102:103], v[152:155]// 000000014814: D3F30098 0E62CD16
	v_mfma_f32_16x16x32_fp8_fp8 v[156:159], a[24:25], v[96:97], 0// 00000001481C: D3F3009C 0A02C118
	v_mfma_f32_16x16x32_fp8_fp8 v[156:159], a[26:27], v[98:99], v[156:159]// 000000014824: D3F3009C 0E72C51A
	v_mfma_f32_16x16x32_fp8_fp8 v[156:159], a[28:29], v[100:101], v[156:159]// 00000001482C: D3F3009C 0E72C91C
	v_mfma_f32_16x16x32_fp8_fp8 v[156:159], a[30:31], v[102:103], v[156:159]// 000000014834: D3F3009C 0E72CD1E
	buffer_load_dword v43, v3, s[32:35], 0 offen               // 00000001483C: E0501000 80082B03
	v_mov_b32_dpp v64, v42 row_shr:4 row_mask:0xf bank_mask:0xf// 000000014844: 7E8002FA FF01142A
	v_mov_b32_dpp v65, v42 row_shl:4 row_mask:0xf bank_mask:0xf// 00000001484C: 7E8202FA FF01042A
	v_cndmask_b32_e64 v248, v42, v64, s[44:45]                 // 000000014854: D10000F8 00B2812A
	v_cndmask_b32_e64 v249, v65, v42, s[44:45]                 // 00000001485C: D10000F9 00B25541
	v_mov_b32_dpp v64, v248 row_shr:8 row_mask:0xf bank_mask:0xf// 000000014864: 7E8002FA FF0118F8
	v_mov_b32_dpp v65, v248 row_shl:8 row_mask:0xf bank_mask:0xf// 00000001486C: 7E8202FA FF0108F8
	v_mov_b32_dpp v66, v249 row_shr:8 row_mask:0xf bank_mask:0xf// 000000014874: 7E8402FA FF0118F9
	v_mov_b32_dpp v67, v249 row_shl:8 row_mask:0xf bank_mask:0xf// 00000001487C: 7E8602FA FF0108F9
	v_mov_b32_e32 v68, v248                                    // 000000014884: 7E8803F8
	v_mov_b32_e32 v69, v249                                    // 000000014888: 7E8A03F9
	v_cndmask_b32_e64 v248, v68, v64, s[42:43]                 // 00000001488C: D10000F8 00AA8144
	v_cndmask_b32_e64 v250, v68, v65, s[78:79]                 // 000000014894: D10000FA 013A8344
	v_cndmask_b32_e64 v249, v69, v66, s[42:43]                 // 00000001489C: D10000F9 00AA8545
	v_cndmask_b32_e64 v251, v69, v67, s[78:79]                 // 0000000148A4: D10000FB 013A8745
	v_mov_b32_dpp v64, v57 row_shr:4 row_mask:0xf bank_mask:0xf// 0000000148AC: 7E8002FA FF011439
	v_mov_b32_dpp v65, v57 row_shl:4 row_mask:0xf bank_mask:0xf// 0000000148B4: 7E8202FA FF010439
	v_cndmask_b32_e64 v252, v57, v64, s[44:45]                 // 0000000148BC: D10000FC 00B28139
	v_cndmask_b32_e64 v253, v65, v57, s[44:45]                 // 0000000148C4: D10000FD 00B27341
	v_mov_b32_dpp v64, v252 row_shr:8 row_mask:0xf bank_mask:0xf// 0000000148CC: 7E8002FA FF0118FC
	v_mov_b32_dpp v65, v252 row_shl:8 row_mask:0xf bank_mask:0xf// 0000000148D4: 7E8202FA FF0108FC
	v_mov_b32_dpp v66, v253 row_shr:8 row_mask:0xf bank_mask:0xf// 0000000148DC: 7E8402FA FF0118FD
	v_mov_b32_dpp v67, v253 row_shl:8 row_mask:0xf bank_mask:0xf// 0000000148E4: 7E8602FA FF0108FD
	v_mov_b32_e32 v68, v252                                    // 0000000148EC: 7E8803FC
	v_mov_b32_e32 v69, v253                                    // 0000000148F0: 7E8A03FD
	v_cndmask_b32_e64 v252, v68, v64, s[42:43]                 // 0000000148F4: D10000FC 00AA8144
	v_cndmask_b32_e64 v254, v68, v65, s[78:79]                 // 0000000148FC: D10000FE 013A8344
	v_cndmask_b32_e64 v253, v69, v66, s[42:43]                 // 000000014904: D10000FD 00AA8545
	v_cndmask_b32_e64 v255, v69, v67, s[78:79]                 // 00000001490C: D10000FF 013A8745
	buffer_load_dword v58, v56, s[36:39], 0 offen              // 000000014914: E0501000 80093A38
	v_mul_f32_e32 v112, v18, v112                              // 00000001491C: 0AE0E112
	v_mul_f32_e32 v113, v18, v113                              // 000000014920: 0AE2E312
	v_mul_f32_e32 v114, v18, v114                              // 000000014924: 0AE4E512
	v_mul_f32_e32 v115, v18, v115                              // 000000014928: 0AE6E712
	v_mul_f32_e32 v116, v18, v116                              // 00000001492C: 0AE8E912
	v_mul_f32_e32 v117, v18, v117                              // 000000014930: 0AEAEB12
	v_mul_f32_e32 v118, v18, v118                              // 000000014934: 0AECED12
	v_mul_f32_e32 v119, v18, v119                              // 000000014938: 0AEEEF12
	v_mul_f32_e32 v120, v18, v120                              // 00000001493C: 0AF0F112
	v_mul_f32_e32 v121, v18, v121                              // 000000014940: 0AF2F312
	v_mul_f32_e32 v122, v18, v122                              // 000000014944: 0AF4F512
	v_mul_f32_e32 v123, v18, v123                              // 000000014948: 0AF6F712
	v_mul_f32_e32 v124, v18, v124                              // 00000001494C: 0AF8F912
	v_mul_f32_e32 v125, v18, v125                              // 000000014950: 0AFAFB12
	v_mul_f32_e32 v126, v18, v126                              // 000000014954: 0AFCFD12
	v_mul_f32_e32 v127, v18, v127                              // 000000014958: 0AFEFF12
	buffer_load_dwordx4 a[48:51], v28, s[16:19], 0 offen       // 00000001495C: E05C1000 8084301C
	v_mul_f32_dpp v112, v248, v112 quad_perm:[0,0,0,0] row_mask:0xf bank_mask:0xf// 000000014964: 0AE0E0FA FF0000F8
	v_mul_f32_dpp v113, v248, v113 quad_perm:[1,1,1,1] row_mask:0xf bank_mask:0xf// 00000001496C: 0AE2E2FA FF0055F8
	v_mul_f32_dpp v114, v248, v114 quad_perm:[2,2,2,2] row_mask:0xf bank_mask:0xf// 000000014974: 0AE4E4FA FF00AAF8
	v_mul_f32_dpp v115, v248, v115 quad_perm:[3,3,3,3] row_mask:0xf bank_mask:0xf// 00000001497C: 0AE6E6FA FF00FFF8
	v_mul_f32_dpp v116, v249, v116 quad_perm:[0,0,0,0] row_mask:0xf bank_mask:0xf// 000000014984: 0AE8E8FA FF0000F9
	v_mul_f32_dpp v117, v249, v117 quad_perm:[1,1,1,1] row_mask:0xf bank_mask:0xf// 00000001498C: 0AEAEAFA FF0055F9
	v_mul_f32_dpp v118, v249, v118 quad_perm:[2,2,2,2] row_mask:0xf bank_mask:0xf// 000000014994: 0AECECFA FF00AAF9
	v_mul_f32_dpp v119, v249, v119 quad_perm:[3,3,3,3] row_mask:0xf bank_mask:0xf// 00000001499C: 0AEEEEFA FF00FFF9
	v_mul_f32_dpp v120, v250, v120 quad_perm:[0,0,0,0] row_mask:0xf bank_mask:0xf// 0000000149A4: 0AF0F0FA FF0000FA
	v_mul_f32_dpp v121, v250, v121 quad_perm:[1,1,1,1] row_mask:0xf bank_mask:0xf// 0000000149AC: 0AF2F2FA FF0055FA
	v_mul_f32_dpp v122, v250, v122 quad_perm:[2,2,2,2] row_mask:0xf bank_mask:0xf// 0000000149B4: 0AF4F4FA FF00AAFA
	v_mul_f32_dpp v123, v250, v123 quad_perm:[3,3,3,3] row_mask:0xf bank_mask:0xf// 0000000149BC: 0AF6F6FA FF00FFFA
	v_mul_f32_dpp v124, v251, v124 quad_perm:[0,0,0,0] row_mask:0xf bank_mask:0xf// 0000000149C4: 0AF8F8FA FF0000FB
	v_mul_f32_dpp v125, v251, v125 quad_perm:[1,1,1,1] row_mask:0xf bank_mask:0xf// 0000000149CC: 0AFAFAFA FF0055FB
	v_mul_f32_dpp v126, v251, v126 quad_perm:[2,2,2,2] row_mask:0xf bank_mask:0xf// 0000000149D4: 0AFCFCFA FF00AAFB
	v_mul_f32_dpp v127, v251, v127 quad_perm:[3,3,3,3] row_mask:0xf bank_mask:0xf// 0000000149DC: 0AFEFEFA FF00FFFB
	buffer_load_dwordx4 a[52:55], v28, s[16:19], 0 offen offset:1024// 0000000149E4: E05C1400 8084341C
	s_cmp_le_i32 s90, s89                                      // 0000000149EC: BF05595A
	s_cbranch_scc1 label_4A6E                                  // 0000000149F0: BF850071
	v_mov_b32_e32 v66, 0xff800000                              // 0000000149F4: 7E8402FF FF800000
	s_mov_b32 s60, s90                                         // 0000000149FC: BEBC005A
	s_add_u32 s61, s89, 0xff                                   // 000000014A00: 803DFF59 000000FF
	v_mov_b32_e32 v64, s61                                     // 000000014A08: 7E80023D
	v_lshrrev_b32_e32 v240, 4, v0                              // 000000014A0C: 21E00084
	v_mul_i32_i24_e32 v240, 4, v240                            // 000000014A10: 0DE1E084
	v_add_u32_e32 v240, s60, v240                              // 000000014A14: 69E1E03C
	s_mov_b32 s61, 0                                           // 000000014A18: BEBD0080
	s_mul_i32 s60, 16, s7                                      // 000000014A1C: 923C0790
	v_sub_u32_e64 v240, v240, s61                              // 000000014A20: D13500F0 00007BF0
	v_add_u32_e32 v240, s60, v240                              // 000000014A28: 69E1E03C
	v_add_u32_e32 v241, 1, v240                                // 000000014A2C: 69E3E081
	v_add_u32_e32 v242, 2, v240                                // 000000014A30: 69E5E082
	v_add_u32_e32 v243, 3, v240                                // 000000014A34: 69E7E083
	v_cmp_le_u32_e64 s[40:41], v240, v64                       // 000000014A38: D0CB0028 000281F0
	v_add_u32_e32 v240, 64, v240                               // 000000014A40: 69E1E0C0
	s_nop 0                                                    // 000000014A44: BF800000
	v_cndmask_b32_e64 v112, v66, v112, s[40:41]                // 000000014A48: D1000070 00A2E142
	v_cmp_le_u32_e64 s[40:41], v241, v64                       // 000000014A50: D0CB0028 000281F1
	v_add_u32_e32 v241, 64, v241                               // 000000014A58: 69E3E2C0
	s_nop 0                                                    // 000000014A5C: BF800000
	v_cndmask_b32_e64 v113, v66, v113, s[40:41]                // 000000014A60: D1000071 00A2E342
	v_cmp_le_u32_e64 s[40:41], v242, v64                       // 000000014A68: D0CB0028 000281F2
	v_add_u32_e32 v242, 64, v242                               // 000000014A70: 69E5E4C0
	s_nop 0                                                    // 000000014A74: BF800000
	v_cndmask_b32_e64 v114, v66, v114, s[40:41]                // 000000014A78: D1000072 00A2E542
	v_cmp_le_u32_e64 s[40:41], v243, v64                       // 000000014A80: D0CB0028 000281F3
	v_add_u32_e32 v243, 64, v243                               // 000000014A88: 69E7E6C0
	s_nop 0                                                    // 000000014A8C: BF800000
	v_cndmask_b32_e64 v115, v66, v115, s[40:41]                // 000000014A90: D1000073 00A2E742
	v_cmp_le_u32_e64 s[40:41], v240, v64                       // 000000014A98: D0CB0028 000281F0
	v_add_u32_e32 v240, 64, v240                               // 000000014AA0: 69E1E0C0
	s_nop 0                                                    // 000000014AA4: BF800000
	v_cndmask_b32_e64 v116, v66, v116, s[40:41]                // 000000014AA8: D1000074 00A2E942
	v_cmp_le_u32_e64 s[40:41], v241, v64                       // 000000014AB0: D0CB0028 000281F1
	v_add_u32_e32 v241, 64, v241                               // 000000014AB8: 69E3E2C0
	s_nop 0                                                    // 000000014ABC: BF800000
	v_cndmask_b32_e64 v117, v66, v117, s[40:41]                // 000000014AC0: D1000075 00A2EB42
	v_cmp_le_u32_e64 s[40:41], v242, v64                       // 000000014AC8: D0CB0028 000281F2
	v_add_u32_e32 v242, 64, v242                               // 000000014AD0: 69E5E4C0
	s_nop 0                                                    // 000000014AD4: BF800000
	v_cndmask_b32_e64 v118, v66, v118, s[40:41]                // 000000014AD8: D1000076 00A2ED42
	v_cmp_le_u32_e64 s[40:41], v243, v64                       // 000000014AE0: D0CB0028 000281F3
	v_add_u32_e32 v243, 64, v243                               // 000000014AE8: 69E7E6C0
	s_nop 0                                                    // 000000014AEC: BF800000
	v_cndmask_b32_e64 v119, v66, v119, s[40:41]                // 000000014AF0: D1000077 00A2EF42
	v_cmp_le_u32_e64 s[40:41], v240, v64                       // 000000014AF8: D0CB0028 000281F0
	v_add_u32_e32 v240, 64, v240                               // 000000014B00: 69E1E0C0
	s_nop 0                                                    // 000000014B04: BF800000
	v_cndmask_b32_e64 v120, v66, v120, s[40:41]                // 000000014B08: D1000078 00A2F142
	v_cmp_le_u32_e64 s[40:41], v241, v64                       // 000000014B10: D0CB0028 000281F1
	v_add_u32_e32 v241, 64, v241                               // 000000014B18: 69E3E2C0
	s_nop 0                                                    // 000000014B1C: BF800000
	v_cndmask_b32_e64 v121, v66, v121, s[40:41]                // 000000014B20: D1000079 00A2F342
	v_cmp_le_u32_e64 s[40:41], v242, v64                       // 000000014B28: D0CB0028 000281F2
	v_add_u32_e32 v242, 64, v242                               // 000000014B30: 69E5E4C0
	s_nop 0                                                    // 000000014B34: BF800000
	v_cndmask_b32_e64 v122, v66, v122, s[40:41]                // 000000014B38: D100007A 00A2F542
	v_cmp_le_u32_e64 s[40:41], v243, v64                       // 000000014B40: D0CB0028 000281F3
	v_add_u32_e32 v243, 64, v243                               // 000000014B48: 69E7E6C0
	s_nop 0                                                    // 000000014B4C: BF800000
	v_cndmask_b32_e64 v123, v66, v123, s[40:41]                // 000000014B50: D100007B 00A2F742
	v_cmp_le_u32_e64 s[40:41], v240, v64                       // 000000014B58: D0CB0028 000281F0
	v_add_u32_e32 v240, 64, v240                               // 000000014B60: 69E1E0C0
	s_nop 0                                                    // 000000014B64: BF800000
	v_cndmask_b32_e64 v124, v66, v124, s[40:41]                // 000000014B68: D100007C 00A2F942
	v_cmp_le_u32_e64 s[40:41], v241, v64                       // 000000014B70: D0CB0028 000281F1
	v_add_u32_e32 v241, 64, v241                               // 000000014B78: 69E3E2C0
	s_nop 0                                                    // 000000014B7C: BF800000
	v_cndmask_b32_e64 v125, v66, v125, s[40:41]                // 000000014B80: D100007D 00A2FB42
	v_cmp_le_u32_e64 s[40:41], v242, v64                       // 000000014B88: D0CB0028 000281F2
	v_add_u32_e32 v242, 64, v242                               // 000000014B90: 69E5E4C0
	s_nop 0                                                    // 000000014B94: BF800000
	v_cndmask_b32_e64 v126, v66, v126, s[40:41]                // 000000014B98: D100007E 00A2FD42
	v_cmp_le_u32_e64 s[40:41], v243, v64                       // 000000014BA0: D0CB0028 000281F3
	v_add_u32_e32 v243, 64, v243                               // 000000014BA8: 69E7E6C0
	s_nop 0                                                    // 000000014BAC: BF800000
	v_cndmask_b32_e64 v127, v66, v127, s[40:41]                // 000000014BB0: D100007F 00A2FF42

0000000000014bb8 <label_4A6E>:
	v_mov_b32_e32 v48, v112                                    // 000000014BB8: 7E600370
	v_max3_f32 v48, v112, v113, v48                            // 000000014BBC: D1D30030 04C2E370
	v_max3_f32 v48, v114, v115, v48                            // 000000014BC4: D1D30030 04C2E772
	v_max3_f32 v48, v116, v117, v48                            // 000000014BCC: D1D30030 04C2EB74
	v_max3_f32 v48, v118, v119, v48                            // 000000014BD4: D1D30030 04C2EF76
	v_max3_f32 v48, v120, v121, v48                            // 000000014BDC: D1D30030 04C2F378
	v_max3_f32 v48, v122, v123, v48                            // 000000014BE4: D1D30030 04C2F77A
	v_max3_f32 v48, v124, v125, v48                            // 000000014BEC: D1D30030 04C2FB7C
	v_max3_f32 v48, v126, v127, v48                            // 000000014BF4: D1D30030 04C2FF7E
	ds_write_b32 v8, v48 offset:16896                          // 000000014BFC: D81A4200 00003008
	buffer_load_dwordx4 a[56:59], v29, s[16:19], 0 offen       // 000000014C04: E05C1000 8084381D
	v_mul_u32_u24_dpp v64, v17, v54 row_newbcast:1 row_mask:0xf bank_mask:0xf// 000000014C0C: 10806CFA FF015111
	v_mul_u32_u24_dpp v65, v17, v54 row_newbcast:5 row_mask:0xf bank_mask:0xf// 000000014C14: 10826CFA FF015511
	v_mul_u32_u24_dpp v66, v17, v54 row_newbcast:9 row_mask:0xf bank_mask:0xf// 000000014C1C: 10846CFA FF015911
	v_mul_u32_u24_dpp v67, v17, v54 row_newbcast:13 row_mask:0xf bank_mask:0xf// 000000014C24: 10866CFA FF015D11
	v_add_u32_e32 v34, v64, v6                                 // 000000014C2C: 68440D40
	v_add_u32_e32 v35, v65, v6                                 // 000000014C30: 68460D41
	v_add_u32_e32 v36, v66, v6                                 // 000000014C34: 68480D42
	v_add_u32_e32 v37, v67, v6                                 // 000000014C38: 684A0D43
	v_mul_f32_e32 v208, v49, v208                              // 000000014C3C: 0BA1A131
	v_mul_f32_e32 v209, v49, v209                              // 000000014C40: 0BA3A331
	v_mul_f32_e32 v210, v49, v210                              // 000000014C44: 0BA5A531
	v_mul_f32_e32 v211, v49, v211                              // 000000014C48: 0BA7A731
	v_mul_f32_e32 v212, v49, v212                              // 000000014C4C: 0BA9A931
	v_mul_f32_e32 v213, v49, v213                              // 000000014C50: 0BABAB31
	v_mul_f32_e32 v214, v49, v214                              // 000000014C54: 0BADAD31
	v_mul_f32_e32 v215, v49, v215                              // 000000014C58: 0BAFAF31
	s_waitcnt lgkmcnt(0)                                       // 000000014C5C: BF8CC07F
	s_barrier                                                  // 000000014C60: BF8A0000
	ds_read_b32 v64, v7 offset:16896                           // 000000014C64: D86C4200 40000007
	ds_read_b32 v65, v7 offset:16960                           // 000000014C6C: D86C4240 41000007
	ds_read_b32 v66, v7 offset:17024                           // 000000014C74: D86C4280 42000007
	ds_read_b32 v67, v7 offset:17088                           // 000000014C7C: D86C42C0 43000007
	ds_read_b32 v68, v7 offset:17152                           // 000000014C84: D86C4300 44000007
	ds_read_b32 v69, v7 offset:17216                           // 000000014C8C: D86C4340 45000007
	ds_read_b32 v70, v7 offset:17280                           // 000000014C94: D86C4380 46000007
	ds_read_b32 v71, v7 offset:17344                           // 000000014C9C: D86C43C0 47000007
	ds_read_b32 v72, v7 offset:17408                           // 000000014CA4: D86C4400 48000007
	ds_read_b32 v73, v7 offset:17472                           // 000000014CAC: D86C4440 49000007
	ds_read_b32 v74, v7 offset:17536                           // 000000014CB4: D86C4480 4A000007
	ds_read_b32 v75, v7 offset:17600                           // 000000014CBC: D86C44C0 4B000007
	ds_read_b32 v76, v7 offset:17664                           // 000000014CC4: D86C4500 4C000007
	ds_read_b32 v77, v7 offset:17728                           // 000000014CCC: D86C4540 4D000007
	ds_read_b32 v78, v7 offset:17792                           // 000000014CD4: D86C4580 4E000007
	ds_read_b32 v79, v7 offset:17856                           // 000000014CDC: D86C45C0 4F000007
	buffer_load_dwordx4 a[60:63], v29, s[16:19], 0 offen offset:1024// 000000014CE4: E05C1400 80843C1D
	v_mul_f32_e32 v176, v44, v176                              // 000000014CEC: 0B61612C
	v_mul_f32_e32 v177, v44, v177                              // 000000014CF0: 0B63632C
	v_mul_f32_e32 v178, v44, v178                              // 000000014CF4: 0B65652C
	v_mul_f32_e32 v179, v44, v179                              // 000000014CF8: 0B67672C
	v_mul_f32_e32 v180, v44, v180                              // 000000014CFC: 0B69692C
	v_mul_f32_e32 v181, v44, v181                              // 000000014D00: 0B6B6B2C
	v_mul_f32_e32 v182, v44, v182                              // 000000014D04: 0B6D6D2C
	v_mul_f32_e32 v183, v44, v183                              // 000000014D08: 0B6F6F2C
	s_waitcnt lgkmcnt(0)                                       // 000000014D0C: BF8CC07F
	v_max3_f32 v48, v64, v65, v48                              // 000000014D10: D1D30030 04C28340
	v_max3_f32 v48, v66, v67, v48                              // 000000014D18: D1D30030 04C28742
	v_max3_f32 v48, v68, v69, v48                              // 000000014D20: D1D30030 04C28B44
	v_max3_f32 v48, v70, v71, v48                              // 000000014D28: D1D30030 04C28F46
	v_max3_f32 v48, v72, v73, v48                              // 000000014D30: D1D30030 04C29348
	v_max3_f32 v48, v74, v75, v48                              // 000000014D38: D1D30030 04C2974A
	v_max3_f32 v48, v76, v77, v48                              // 000000014D40: D1D30030 04C29B4C
	v_max3_f32 v48, v78, v79, v48                              // 000000014D48: D1D30030 04C29F4E
	buffer_load_dwordx4 a[96:99], v34, s[20:23], 0 offen       // 000000014D50: E05C1000 80856022
	v_mov_b32_e32 v64, 0xff800000                              // 000000014D58: 7E8002FF FF800000
	v_cmp_eq_u32_e64 s[40:41], v64, v11                        // 000000014D60: D0CA0028 00021740
	s_nop 1                                                    // 000000014D68: BF800001
	v_max_f32_e32 v15, v48, v11                                // 000000014D6C: 161E1730
	v_mul_f32_e32 v53, s64, v15                                // 000000014D70: 0A6A1E40
	v_fma_f32 v112, v112, s64, -v53                            // 000000014D74: D1CB0070 84D48170
	v_fma_f32 v113, v113, s64, -v53                            // 000000014D7C: D1CB0071 84D48171
	v_fma_f32 v114, v114, s64, -v53                            // 000000014D84: D1CB0072 84D48172
	v_fma_f32 v115, v115, s64, -v53                            // 000000014D8C: D1CB0073 84D48173
	v_fma_f32 v116, v116, s64, -v53                            // 000000014D94: D1CB0074 84D48174
	v_fma_f32 v117, v117, s64, -v53                            // 000000014D9C: D1CB0075 84D48175
	v_fma_f32 v118, v118, s64, -v53                            // 000000014DA4: D1CB0076 84D48176
	v_fma_f32 v119, v119, s64, -v53                            // 000000014DAC: D1CB0077 84D48177
	v_fma_f32 v120, v120, s64, -v53                            // 000000014DB4: D1CB0078 84D48178
	v_fma_f32 v121, v121, s64, -v53                            // 000000014DBC: D1CB0079 84D48179
	v_fma_f32 v122, v122, s64, -v53                            // 000000014DC4: D1CB007A 84D4817A
	v_fma_f32 v123, v123, s64, -v53                            // 000000014DCC: D1CB007B 84D4817B
	v_fma_f32 v124, v124, s64, -v53                            // 000000014DD4: D1CB007C 84D4817C
	v_fma_f32 v125, v125, s64, -v53                            // 000000014DDC: D1CB007D 84D4817D
	v_fma_f32 v126, v126, s64, -v53                            // 000000014DE4: D1CB007E 84D4817E
	v_fma_f32 v127, v127, s64, -v53                            // 000000014DEC: D1CB007F 84D4817F
	buffer_load_dwordx4 a[100:103], v35, s[20:23], 0 offen     // 000000014DF4: E05C1000 80856423
	v_exp_f32_e32 v112, v112                                   // 000000014DFC: 7EE04170
	v_exp_f32_e32 v113, v113                                   // 000000014E00: 7EE24171
	v_exp_f32_e32 v114, v114                                   // 000000014E04: 7EE44172
	v_exp_f32_e32 v115, v115                                   // 000000014E08: 7EE64173
	v_exp_f32_e32 v116, v116                                   // 000000014E0C: 7EE84174
	v_exp_f32_e32 v117, v117                                   // 000000014E10: 7EEA4175
	v_exp_f32_e32 v118, v118                                   // 000000014E14: 7EEC4176
	v_exp_f32_e32 v119, v119                                   // 000000014E18: 7EEE4177
	v_exp_f32_e32 v120, v120                                   // 000000014E1C: 7EF04178
	v_exp_f32_e32 v121, v121                                   // 000000014E20: 7EF24179
	v_exp_f32_e32 v122, v122                                   // 000000014E24: 7EF4417A
	v_exp_f32_e32 v123, v123                                   // 000000014E28: 7EF6417B
	v_exp_f32_e32 v124, v124                                   // 000000014E2C: 7EF8417C
	v_exp_f32_e32 v125, v125                                   // 000000014E30: 7EFA417D
	v_exp_f32_e32 v126, v126                                   // 000000014E34: 7EFC417E
	v_exp_f32_e32 v127, v127                                   // 000000014E38: 7EFE417F
	buffer_load_dwordx4 a[104:107], v36, s[20:23], 0 offen     // 000000014E3C: E05C1000 80856824
	v_mul_f32_dpp v240, v252, v112 quad_perm:[0,0,0,0] row_mask:0xf bank_mask:0xf// 000000014E44: 0BE0E0FA FF0000FC
	v_mul_f32_dpp v241, v252, v113 quad_perm:[1,1,1,1] row_mask:0xf bank_mask:0xf// 000000014E4C: 0BE2E2FA FF0055FC
	v_mul_f32_dpp v242, v252, v114 quad_perm:[2,2,2,2] row_mask:0xf bank_mask:0xf// 000000014E54: 0BE4E4FA FF00AAFC
	v_mul_f32_dpp v243, v252, v115 quad_perm:[3,3,3,3] row_mask:0xf bank_mask:0xf// 000000014E5C: 0BE6E6FA FF00FFFC
	v_mul_f32_dpp v244, v253, v116 quad_perm:[0,0,0,0] row_mask:0xf bank_mask:0xf// 000000014E64: 0BE8E8FA FF0000FD
	v_mul_f32_dpp v245, v253, v117 quad_perm:[1,1,1,1] row_mask:0xf bank_mask:0xf// 000000014E6C: 0BEAEAFA FF0055FD
	v_mul_f32_dpp v246, v253, v118 quad_perm:[2,2,2,2] row_mask:0xf bank_mask:0xf// 000000014E74: 0BECECFA FF00AAFD
	v_mul_f32_dpp v247, v253, v119 quad_perm:[3,3,3,3] row_mask:0xf bank_mask:0xf// 000000014E7C: 0BEEEEFA FF00FFFD
	v_mul_f32_dpp v248, v254, v120 quad_perm:[0,0,0,0] row_mask:0xf bank_mask:0xf// 000000014E84: 0BF0F0FA FF0000FE
	v_mul_f32_dpp v249, v254, v121 quad_perm:[1,1,1,1] row_mask:0xf bank_mask:0xf// 000000014E8C: 0BF2F2FA FF0055FE
	v_mul_f32_dpp v250, v254, v122 quad_perm:[2,2,2,2] row_mask:0xf bank_mask:0xf// 000000014E94: 0BF4F4FA FF00AAFE
	v_mul_f32_dpp v251, v254, v123 quad_perm:[3,3,3,3] row_mask:0xf bank_mask:0xf// 000000014E9C: 0BF6F6FA FF00FFFE
	v_mul_f32_dpp v252, v255, v124 quad_perm:[0,0,0,0] row_mask:0xf bank_mask:0xf// 000000014EA4: 0BF8F8FA FF0000FF
	v_mul_f32_dpp v253, v255, v125 quad_perm:[1,1,1,1] row_mask:0xf bank_mask:0xf// 000000014EAC: 0BFAFAFA FF0055FF
	v_mul_f32_dpp v254, v255, v126 quad_perm:[2,2,2,2] row_mask:0xf bank_mask:0xf// 000000014EB4: 0BFCFCFA FF00AAFF
	v_mul_f32_dpp v255, v255, v127 quad_perm:[3,3,3,3] row_mask:0xf bank_mask:0xf// 000000014EBC: 0BFEFEFA FF00FFFF
	v_mov_b32_e32 v48, 0x358637bd                              // 000000014EC4: 7E6002FF 358637BD
	v_max3_f32 v48, |v240|, |v241|, v48                        // 000000014ECC: D1D30330 04C3E3F0
	v_max3_f32 v48, |v242|, |v243|, v48                        // 000000014ED4: D1D30330 04C3E7F2
	v_max3_f32 v48, |v244|, |v245|, v48                        // 000000014EDC: D1D30330 04C3EBF4
	v_max3_f32 v48, |v246|, |v247|, v48                        // 000000014EE4: D1D30330 04C3EFF6
	v_max3_f32 v48, |v248|, |v249|, v48                        // 000000014EEC: D1D30330 04C3F3F8
	v_max3_f32 v48, |v250|, |v251|, v48                        // 000000014EF4: D1D30330 04C3F7FA
	v_max3_f32 v48, |v252|, |v253|, v48                        // 000000014EFC: D1D30330 04C3FBFC
	v_max3_f32 v48, |v254|, |v255|, v48                        // 000000014F04: D1D30330 04C3FFFE
	buffer_load_dwordx4 a[108:111], v37, s[20:23], 0 offen     // 000000014F0C: E05C1000 80856C25
	ds_write_b32 v8, v48 offset:20992                          // 000000014F14: D81A5200 00003008
	v_sub_f32_e32 v49, v11, v15                                // 000000014F1C: 04621F0B
	v_cndmask_b32_e64 v49, v49, 0, s[40:41]                    // 000000014F20: D1000031 00A10131
	v_mov_b32_e32 v11, v15                                     // 000000014F28: 7E16030F
	v_mul_f32_e32 v49, s64, v49                                // 000000014F2C: 0A626240
	v_exp_f32_e32 v49, v49                                     // 000000014F30: 7E624131
	s_waitcnt lgkmcnt(0)                                       // 000000014F34: BF8CC07F
	s_barrier                                                  // 000000014F38: BF8A0000
	ds_read_b32 v64, v7 offset:20992                           // 000000014F3C: D86C5200 40000007
	ds_read_b32 v65, v7 offset:21056                           // 000000014F44: D86C5240 41000007
	ds_read_b32 v66, v7 offset:21120                           // 000000014F4C: D86C5280 42000007
	ds_read_b32 v67, v7 offset:21184                           // 000000014F54: D86C52C0 43000007
	ds_read_b32 v68, v7 offset:21248                           // 000000014F5C: D86C5300 44000007
	ds_read_b32 v69, v7 offset:21312                           // 000000014F64: D86C5340 45000007
	ds_read_b32 v70, v7 offset:21376                           // 000000014F6C: D86C5380 46000007
	ds_read_b32 v71, v7 offset:21440                           // 000000014F74: D86C53C0 47000007
	ds_read_b32 v72, v7 offset:21504                           // 000000014F7C: D86C5400 48000007
	ds_read_b32 v73, v7 offset:21568                           // 000000014F84: D86C5440 49000007
	ds_read_b32 v74, v7 offset:21632                           // 000000014F8C: D86C5480 4A000007
	ds_read_b32 v75, v7 offset:21696                           // 000000014F94: D86C54C0 4B000007
	ds_read_b32 v76, v7 offset:21760                           // 000000014F9C: D86C5500 4C000007
	ds_read_b32 v77, v7 offset:21824                           // 000000014FA4: D86C5540 4D000007
	ds_read_b32 v78, v7 offset:21888                           // 000000014FAC: D86C5580 4E000007
	ds_read_b32 v79, v7 offset:21952                           // 000000014FB4: D86C55C0 4F000007
	v_mul_f32_e32 v38, v49, v38                                // 000000014FBC: 0A4C4D31
	v_mov_b32_e32 v15, v112                                    // 000000014FC0: 7E1E0370
	v_add_f32_e32 v15, v113, v15                               // 000000014FC4: 021E1F71
	v_add_f32_e32 v15, v114, v15                               // 000000014FC8: 021E1F72
	v_add_f32_e32 v15, v115, v15                               // 000000014FCC: 021E1F73
	v_add_f32_e32 v15, v116, v15                               // 000000014FD0: 021E1F74
	v_add_f32_e32 v15, v117, v15                               // 000000014FD4: 021E1F75
	v_add_f32_e32 v15, v118, v15                               // 000000014FD8: 021E1F76
	v_add_f32_e32 v15, v119, v15                               // 000000014FDC: 021E1F77
	v_add_f32_e32 v15, v120, v15                               // 000000014FE0: 021E1F78
	v_add_f32_e32 v15, v121, v15                               // 000000014FE4: 021E1F79
	v_add_f32_e32 v15, v122, v15                               // 000000014FE8: 021E1F7A
	v_add_f32_e32 v15, v123, v15                               // 000000014FEC: 021E1F7B
	v_add_f32_e32 v15, v124, v15                               // 000000014FF0: 021E1F7C
	v_add_f32_e32 v15, v125, v15                               // 000000014FF4: 021E1F7D
	v_add_f32_e32 v15, v126, v15                               // 000000014FF8: 021E1F7E
	v_add_f32_e32 v15, v127, v15                               // 000000014FFC: 021E1F7F
	v_add_f32_e32 v38, v15, v38                                // 000000015000: 024C4D0F
	s_waitcnt lgkmcnt(0)                                       // 000000015004: BF8CC07F
	v_max3_f32 v48, |v64|, |v65|, v48                          // 000000015008: D1D30330 04C28340
	v_max3_f32 v48, |v66|, |v67|, v48                          // 000000015010: D1D30330 04C28742
	v_max3_f32 v48, |v68|, |v69|, v48                          // 000000015018: D1D30330 04C28B44
	v_max3_f32 v48, |v70|, |v71|, v48                          // 000000015020: D1D30330 04C28F46
	v_max3_f32 v48, |v72|, |v73|, v48                          // 000000015028: D1D30330 04C29348
	v_max3_f32 v48, |v74|, |v75|, v48                          // 000000015030: D1D30330 04C2974A
	v_max3_f32 v48, |v76|, |v77|, v48                          // 000000015038: D1D30330 04C29B4C
	v_max3_f32 v48, |v78|, |v79|, v48                          // 000000015040: D1D30330 04C29F4E
	s_nop 2                                                    // 000000015048: BF800002
	v_rcp_f32_e32 v48, v48                                     // 00000001504C: 7E604530
	s_nop 1                                                    // 000000015050: BF800001
	v_mul_f32_e32 v48, 0x43700000, v48                         // 000000015054: 0A6060FF 43700000
	v_mul_f32_e32 v112, v48, v240                              // 00000001505C: 0AE1E130
	v_mul_f32_e32 v113, v48, v241                              // 000000015060: 0AE3E330
	v_mul_f32_e32 v114, v48, v242                              // 000000015064: 0AE5E530
	v_mul_f32_e32 v115, v48, v243                              // 000000015068: 0AE7E730
	v_mul_f32_e32 v116, v48, v244                              // 00000001506C: 0AE9E930
	v_mul_f32_e32 v117, v48, v245                              // 000000015070: 0AEBEB30
	v_mul_f32_e32 v118, v48, v246                              // 000000015074: 0AEDED30
	v_mul_f32_e32 v119, v48, v247                              // 000000015078: 0AEFEF30
	v_mul_f32_e32 v120, v48, v248                              // 00000001507C: 0AF1F130
	v_mul_f32_e32 v121, v48, v249                              // 000000015080: 0AF3F330
	v_mul_f32_e32 v122, v48, v250                              // 000000015084: 0AF5F530
	v_mul_f32_e32 v123, v48, v251                              // 000000015088: 0AF7F730
	v_mul_f32_e32 v124, v48, v252                              // 00000001508C: 0AF9F930
	v_mul_f32_e32 v125, v48, v253                              // 000000015090: 0AFBFB30
	v_mul_f32_e32 v126, v48, v254                              // 000000015094: 0AFDFD30
	v_mul_f32_e32 v127, v48, v255                              // 000000015098: 0AFFFF30
	v_cvt_pk_fp8_f32 v112, v112, v113                          // 00000001509C: D2A20070 0002E370
	v_cvt_pk_fp8_f32 v112, v114, v115 op_sel:[0,0,1]           // 0000000150A4: D2A24070 0002E772
	v_cvt_pk_fp8_f32 v113, v116, v117                          // 0000000150AC: D2A20071 0002EB74
	v_cvt_pk_fp8_f32 v113, v118, v119 op_sel:[0,0,1]           // 0000000150B4: D2A24071 0002EF76
	v_cvt_pk_fp8_f32 v114, v120, v121                          // 0000000150BC: D2A20072 0002F378
	v_cvt_pk_fp8_f32 v114, v122, v123 op_sel:[0,0,1]           // 0000000150C4: D2A24072 0002F77A
	v_cvt_pk_fp8_f32 v115, v124, v125                          // 0000000150CC: D2A20073 0002FB7C
	v_cvt_pk_fp8_f32 v115, v126, v127 op_sel:[0,0,1]           // 0000000150D4: D2A24073 0002FF7E
	ds_write_b32 v10, v112 offset:25088                        // 0000000150DC: D81A6200 0000700A
	ds_write_b32 v10, v113 offset:26112                        // 0000000150E4: D81A6600 0000710A
	ds_write_b32 v10, v114 offset:27136                        // 0000000150EC: D81A6A00 0000720A
	ds_write_b32 v10, v115 offset:28160                        // 0000000150F4: D81A6E00 0000730A
	v_add_f32_e32 v208, v208, v176                             // 0000000150FC: 03A161D0
	v_add_f32_e32 v209, v209, v177                             // 000000015100: 03A363D1
	v_add_f32_e32 v210, v210, v178                             // 000000015104: 03A565D2
	v_add_f32_e32 v211, v211, v179                             // 000000015108: 03A767D3
	v_add_f32_e32 v212, v212, v180                             // 00000001510C: 03A969D4
	v_add_f32_e32 v213, v213, v181                             // 000000015110: 03AB6BD5
	v_add_f32_e32 v214, v214, v182                             // 000000015114: 03AD6DD6
	v_add_f32_e32 v215, v215, v183                             // 000000015118: 03AF6FD7
	v_rcp_f32_e32 v44, v48                                     // 00000001511C: 7E584530
	s_waitcnt lgkmcnt(0)                                       // 000000015120: BF8CC07F
	s_barrier                                                  // 000000015124: BF8A0000
	ds_read_b64 v[112:113], v9 offset:25088                    // 000000015128: D8EC6200 70000009
	ds_read_b64 v[114:115], v9 offset:25216                    // 000000015130: D8EC6280 72000009
	ds_read_b64 v[116:117], v9 offset:26112                    // 000000015138: D8EC6600 74000009
	ds_read_b64 v[118:119], v9 offset:26240                    // 000000015140: D8EC6680 76000009
	ds_read_b64 v[120:121], v9 offset:27136                    // 000000015148: D8EC6A00 78000009
	ds_read_b64 v[122:123], v9 offset:27264                    // 000000015150: D8EC6A80 7A000009
	ds_read_b64 v[124:125], v9 offset:28160                    // 000000015158: D8EC6E00 7C000009
	ds_read_b64 v[126:127], v9 offset:28288                    // 000000015160: D8EC6E80 7E000009
	v_mov_b32_dpp v64, v42 row_shr:4 row_mask:0xf bank_mask:0xf// 000000015168: 7E8002FA FF01142A
	v_mov_b32_dpp v65, v42 row_shl:4 row_mask:0xf bank_mask:0xf// 000000015170: 7E8202FA FF01042A
	v_cndmask_b32_e64 v248, v42, v64, s[44:45]                 // 000000015178: D10000F8 00B2812A
	v_cndmask_b32_e64 v249, v65, v42, s[44:45]                 // 000000015180: D10000F9 00B25541
	v_mov_b32_dpp v64, v248 row_shr:8 row_mask:0xf bank_mask:0xf// 000000015188: 7E8002FA FF0118F8
	v_mov_b32_dpp v65, v248 row_shl:8 row_mask:0xf bank_mask:0xf// 000000015190: 7E8202FA FF0108F8
	v_mov_b32_dpp v66, v249 row_shr:8 row_mask:0xf bank_mask:0xf// 000000015198: 7E8402FA FF0118F9
	v_mov_b32_dpp v67, v249 row_shl:8 row_mask:0xf bank_mask:0xf// 0000000151A0: 7E8602FA FF0108F9
	v_mov_b32_e32 v68, v248                                    // 0000000151A8: 7E8803F8
	v_mov_b32_e32 v69, v249                                    // 0000000151AC: 7E8A03F9
	v_cndmask_b32_e64 v248, v68, v64, s[42:43]                 // 0000000151B0: D10000F8 00AA8144
	v_cndmask_b32_e64 v250, v68, v65, s[78:79]                 // 0000000151B8: D10000FA 013A8344
	v_cndmask_b32_e64 v249, v69, v66, s[42:43]                 // 0000000151C0: D10000F9 00AA8545
	v_cndmask_b32_e64 v251, v69, v67, s[78:79]                 // 0000000151C8: D10000FB 013A8745
	v_mov_b32_dpp v64, v57 row_shr:4 row_mask:0xf bank_mask:0xf// 0000000151D0: 7E8002FA FF011439
	v_mov_b32_dpp v65, v57 row_shl:4 row_mask:0xf bank_mask:0xf// 0000000151D8: 7E8202FA FF010439
	v_cndmask_b32_e64 v252, v57, v64, s[44:45]                 // 0000000151E0: D10000FC 00B28139
	v_cndmask_b32_e64 v253, v65, v57, s[44:45]                 // 0000000151E8: D10000FD 00B27341
	v_mov_b32_dpp v64, v252 row_shr:8 row_mask:0xf bank_mask:0xf// 0000000151F0: 7E8002FA FF0118FC
	v_mov_b32_dpp v65, v252 row_shl:8 row_mask:0xf bank_mask:0xf// 0000000151F8: 7E8202FA FF0108FC
	v_mov_b32_dpp v66, v253 row_shr:8 row_mask:0xf bank_mask:0xf// 000000015200: 7E8402FA FF0118FD
	v_mov_b32_dpp v67, v253 row_shl:8 row_mask:0xf bank_mask:0xf// 000000015208: 7E8602FA FF0108FD
	v_mov_b32_e32 v68, v252                                    // 000000015210: 7E8803FC
	v_mov_b32_e32 v69, v253                                    // 000000015214: 7E8A03FD
	v_cndmask_b32_e64 v252, v68, v64, s[42:43]                 // 000000015218: D10000FC 00AA8144
	v_cndmask_b32_e64 v254, v68, v65, s[78:79]                 // 000000015220: D10000FE 013A8344
	v_cndmask_b32_e64 v253, v69, v66, s[42:43]                 // 000000015228: D10000FD 00AA8545
	v_cndmask_b32_e64 v255, v69, v67, s[78:79]                 // 000000015230: D10000FF 013A8745
	v_mul_f32_e32 v128, v19, v128                              // 000000015238: 0B010113
	v_mul_f32_e32 v129, v19, v129                              // 00000001523C: 0B030313
	v_mul_f32_e32 v130, v19, v130                              // 000000015240: 0B050513
	v_mul_f32_e32 v131, v19, v131                              // 000000015244: 0B070713
	v_mul_f32_e32 v132, v19, v132                              // 000000015248: 0B090913
	v_mul_f32_e32 v133, v19, v133                              // 00000001524C: 0B0B0B13
	v_mul_f32_e32 v134, v19, v134                              // 000000015250: 0B0D0D13
	v_mul_f32_e32 v135, v19, v135                              // 000000015254: 0B0F0F13
	v_mul_f32_e32 v136, v19, v136                              // 000000015258: 0B111113
	v_mul_f32_e32 v137, v19, v137                              // 00000001525C: 0B131313
	v_mul_f32_e32 v138, v19, v138                              // 000000015260: 0B151513
	v_mul_f32_e32 v139, v19, v139                              // 000000015264: 0B171713
	v_mul_f32_e32 v140, v19, v140                              // 000000015268: 0B191913
	v_mul_f32_e32 v141, v19, v141                              // 00000001526C: 0B1B1B13
	v_mul_f32_e32 v142, v19, v142                              // 000000015270: 0B1D1D13
	v_mul_f32_e32 v143, v19, v143                              // 000000015274: 0B1F1F13
	v_mul_f32_dpp v128, v248, v128 quad_perm:[0,0,0,0] row_mask:0xf bank_mask:0xf// 000000015278: 0B0100FA FF0000F8
	v_mul_f32_dpp v129, v248, v129 quad_perm:[1,1,1,1] row_mask:0xf bank_mask:0xf// 000000015280: 0B0302FA FF0055F8
	v_mul_f32_dpp v130, v248, v130 quad_perm:[2,2,2,2] row_mask:0xf bank_mask:0xf// 000000015288: 0B0504FA FF00AAF8
	v_mul_f32_dpp v131, v248, v131 quad_perm:[3,3,3,3] row_mask:0xf bank_mask:0xf// 000000015290: 0B0706FA FF00FFF8
	v_mul_f32_dpp v132, v249, v132 quad_perm:[0,0,0,0] row_mask:0xf bank_mask:0xf// 000000015298: 0B0908FA FF0000F9
	v_mul_f32_dpp v133, v249, v133 quad_perm:[1,1,1,1] row_mask:0xf bank_mask:0xf// 0000000152A0: 0B0B0AFA FF0055F9
	v_mul_f32_dpp v134, v249, v134 quad_perm:[2,2,2,2] row_mask:0xf bank_mask:0xf// 0000000152A8: 0B0D0CFA FF00AAF9
	v_mul_f32_dpp v135, v249, v135 quad_perm:[3,3,3,3] row_mask:0xf bank_mask:0xf// 0000000152B0: 0B0F0EFA FF00FFF9
	v_mul_f32_dpp v136, v250, v136 quad_perm:[0,0,0,0] row_mask:0xf bank_mask:0xf// 0000000152B8: 0B1110FA FF0000FA
	v_mul_f32_dpp v137, v250, v137 quad_perm:[1,1,1,1] row_mask:0xf bank_mask:0xf// 0000000152C0: 0B1312FA FF0055FA
	v_mul_f32_dpp v138, v250, v138 quad_perm:[2,2,2,2] row_mask:0xf bank_mask:0xf// 0000000152C8: 0B1514FA FF00AAFA
	v_mul_f32_dpp v139, v250, v139 quad_perm:[3,3,3,3] row_mask:0xf bank_mask:0xf// 0000000152D0: 0B1716FA FF00FFFA
	v_mul_f32_dpp v140, v251, v140 quad_perm:[0,0,0,0] row_mask:0xf bank_mask:0xf// 0000000152D8: 0B1918FA FF0000FB
	v_mul_f32_dpp v141, v251, v141 quad_perm:[1,1,1,1] row_mask:0xf bank_mask:0xf// 0000000152E0: 0B1B1AFA FF0055FB
	v_mul_f32_dpp v142, v251, v142 quad_perm:[2,2,2,2] row_mask:0xf bank_mask:0xf// 0000000152E8: 0B1D1CFA FF00AAFB
	v_mul_f32_dpp v143, v251, v143 quad_perm:[3,3,3,3] row_mask:0xf bank_mask:0xf// 0000000152F0: 0B1F1EFA FF00FFFB
	s_cmp_le_i32 s90, s89                                      // 0000000152F8: BF05595A
	s_cbranch_scc1 label_4CB1                                  // 0000000152FC: BF850071
	v_mov_b32_e32 v66, 0xff800000                              // 000000015300: 7E8402FF FF800000
	s_mov_b32 s60, s90                                         // 000000015308: BEBC005A
	s_add_u32 s61, s89, 0xff                                   // 00000001530C: 803DFF59 000000FF
	v_mov_b32_e32 v64, s61                                     // 000000015314: 7E80023D
	v_lshrrev_b32_e32 v240, 4, v0                              // 000000015318: 21E00084
	v_mul_i32_i24_e32 v240, 4, v240                            // 00000001531C: 0DE1E084
	v_add_u32_e32 v240, s60, v240                              // 000000015320: 69E1E03C
	s_mov_b32 s61, 1                                           // 000000015324: BEBD0081
	s_mul_i32 s60, 16, s7                                      // 000000015328: 923C0790
	v_sub_u32_e64 v240, v240, s61                              // 00000001532C: D13500F0 00007BF0
	v_add_u32_e32 v240, s60, v240                              // 000000015334: 69E1E03C
	v_add_u32_e32 v241, 1, v240                                // 000000015338: 69E3E081
	v_add_u32_e32 v242, 2, v240                                // 00000001533C: 69E5E082
	v_add_u32_e32 v243, 3, v240                                // 000000015340: 69E7E083
	v_cmp_le_u32_e64 s[40:41], v240, v64                       // 000000015344: D0CB0028 000281F0
	v_add_u32_e32 v240, 64, v240                               // 00000001534C: 69E1E0C0
	s_nop 0                                                    // 000000015350: BF800000
	v_cndmask_b32_e64 v128, v66, v128, s[40:41]                // 000000015354: D1000080 00A30142
	v_cmp_le_u32_e64 s[40:41], v241, v64                       // 00000001535C: D0CB0028 000281F1
	v_add_u32_e32 v241, 64, v241                               // 000000015364: 69E3E2C0
	s_nop 0                                                    // 000000015368: BF800000
	v_cndmask_b32_e64 v129, v66, v129, s[40:41]                // 00000001536C: D1000081 00A30342
	v_cmp_le_u32_e64 s[40:41], v242, v64                       // 000000015374: D0CB0028 000281F2
	v_add_u32_e32 v242, 64, v242                               // 00000001537C: 69E5E4C0
	s_nop 0                                                    // 000000015380: BF800000
	v_cndmask_b32_e64 v130, v66, v130, s[40:41]                // 000000015384: D1000082 00A30542
	v_cmp_le_u32_e64 s[40:41], v243, v64                       // 00000001538C: D0CB0028 000281F3
	v_add_u32_e32 v243, 64, v243                               // 000000015394: 69E7E6C0
	s_nop 0                                                    // 000000015398: BF800000
	v_cndmask_b32_e64 v131, v66, v131, s[40:41]                // 00000001539C: D1000083 00A30742
	v_cmp_le_u32_e64 s[40:41], v240, v64                       // 0000000153A4: D0CB0028 000281F0
	v_add_u32_e32 v240, 64, v240                               // 0000000153AC: 69E1E0C0
	s_nop 0                                                    // 0000000153B0: BF800000
	v_cndmask_b32_e64 v132, v66, v132, s[40:41]                // 0000000153B4: D1000084 00A30942
	v_cmp_le_u32_e64 s[40:41], v241, v64                       // 0000000153BC: D0CB0028 000281F1
	v_add_u32_e32 v241, 64, v241                               // 0000000153C4: 69E3E2C0
	s_nop 0                                                    // 0000000153C8: BF800000
	v_cndmask_b32_e64 v133, v66, v133, s[40:41]                // 0000000153CC: D1000085 00A30B42
	v_cmp_le_u32_e64 s[40:41], v242, v64                       // 0000000153D4: D0CB0028 000281F2
	v_add_u32_e32 v242, 64, v242                               // 0000000153DC: 69E5E4C0
	s_nop 0                                                    // 0000000153E0: BF800000
	v_cndmask_b32_e64 v134, v66, v134, s[40:41]                // 0000000153E4: D1000086 00A30D42
	v_cmp_le_u32_e64 s[40:41], v243, v64                       // 0000000153EC: D0CB0028 000281F3
	v_add_u32_e32 v243, 64, v243                               // 0000000153F4: 69E7E6C0
	s_nop 0                                                    // 0000000153F8: BF800000
	v_cndmask_b32_e64 v135, v66, v135, s[40:41]                // 0000000153FC: D1000087 00A30F42
	v_cmp_le_u32_e64 s[40:41], v240, v64                       // 000000015404: D0CB0028 000281F0
	v_add_u32_e32 v240, 64, v240                               // 00000001540C: 69E1E0C0
	s_nop 0                                                    // 000000015410: BF800000
	v_cndmask_b32_e64 v136, v66, v136, s[40:41]                // 000000015414: D1000088 00A31142
	v_cmp_le_u32_e64 s[40:41], v241, v64                       // 00000001541C: D0CB0028 000281F1
	v_add_u32_e32 v241, 64, v241                               // 000000015424: 69E3E2C0
	s_nop 0                                                    // 000000015428: BF800000
	v_cndmask_b32_e64 v137, v66, v137, s[40:41]                // 00000001542C: D1000089 00A31342
	v_cmp_le_u32_e64 s[40:41], v242, v64                       // 000000015434: D0CB0028 000281F2
	v_add_u32_e32 v242, 64, v242                               // 00000001543C: 69E5E4C0
	s_nop 0                                                    // 000000015440: BF800000
	v_cndmask_b32_e64 v138, v66, v138, s[40:41]                // 000000015444: D100008A 00A31542
	v_cmp_le_u32_e64 s[40:41], v243, v64                       // 00000001544C: D0CB0028 000281F3
	v_add_u32_e32 v243, 64, v243                               // 000000015454: 69E7E6C0
	s_nop 0                                                    // 000000015458: BF800000
	v_cndmask_b32_e64 v139, v66, v139, s[40:41]                // 00000001545C: D100008B 00A31742
	v_cmp_le_u32_e64 s[40:41], v240, v64                       // 000000015464: D0CB0028 000281F0
	v_add_u32_e32 v240, 64, v240                               // 00000001546C: 69E1E0C0
	s_nop 0                                                    // 000000015470: BF800000
	v_cndmask_b32_e64 v140, v66, v140, s[40:41]                // 000000015474: D100008C 00A31942
	v_cmp_le_u32_e64 s[40:41], v241, v64                       // 00000001547C: D0CB0028 000281F1
	v_add_u32_e32 v241, 64, v241                               // 000000015484: 69E3E2C0
	s_nop 0                                                    // 000000015488: BF800000
	v_cndmask_b32_e64 v141, v66, v141, s[40:41]                // 00000001548C: D100008D 00A31B42
	v_cmp_le_u32_e64 s[40:41], v242, v64                       // 000000015494: D0CB0028 000281F2
	v_add_u32_e32 v242, 64, v242                               // 00000001549C: 69E5E4C0
	s_nop 0                                                    // 0000000154A0: BF800000
	v_cndmask_b32_e64 v142, v66, v142, s[40:41]                // 0000000154A4: D100008E 00A31D42
	v_cmp_le_u32_e64 s[40:41], v243, v64                       // 0000000154AC: D0CB0028 000281F3
	v_add_u32_e32 v243, 64, v243                               // 0000000154B4: 69E7E6C0
	s_nop 0                                                    // 0000000154B8: BF800000
	v_cndmask_b32_e64 v143, v66, v143, s[40:41]                // 0000000154BC: D100008F 00A31F42

00000000000154c4 <label_4CB1>:
	v_mov_b32_e32 v48, v128                                    // 0000000154C4: 7E600380
	v_max3_f32 v48, v128, v129, v48                            // 0000000154C8: D1D30030 04C30380
	v_max3_f32 v48, v130, v131, v48                            // 0000000154D0: D1D30030 04C30782
	v_max3_f32 v48, v132, v133, v48                            // 0000000154D8: D1D30030 04C30B84
	v_max3_f32 v48, v134, v135, v48                            // 0000000154E0: D1D30030 04C30F86
	v_max3_f32 v48, v136, v137, v48                            // 0000000154E8: D1D30030 04C31388
	v_max3_f32 v48, v138, v139, v48                            // 0000000154F0: D1D30030 04C3178A
	v_max3_f32 v48, v140, v141, v48                            // 0000000154F8: D1D30030 04C31B8C
	v_max3_f32 v48, v142, v143, v48                            // 000000015500: D1D30030 04C31F8E
	ds_write_b32 v8, v48 offset:16896                          // 000000015508: D81A4200 00003008
	v_mul_f32_e32 v216, v50, v216                              // 000000015510: 0BB1B132
	v_mul_f32_e32 v217, v50, v217                              // 000000015514: 0BB3B332
	v_mul_f32_e32 v218, v50, v218                              // 000000015518: 0BB5B532
	v_mul_f32_e32 v219, v50, v219                              // 00000001551C: 0BB7B732
	v_mul_f32_e32 v220, v50, v220                              // 000000015520: 0BB9B932
	v_mul_f32_e32 v221, v50, v221                              // 000000015524: 0BBBBB32
	v_mul_f32_e32 v222, v50, v222                              // 000000015528: 0BBDBD32
	v_mul_f32_e32 v223, v50, v223                              // 00000001552C: 0BBFBF32
	s_waitcnt lgkmcnt(0)                                       // 000000015530: BF8CC07F
	s_barrier                                                  // 000000015534: BF8A0000
	ds_read_b32 v64, v7 offset:16896                           // 000000015538: D86C4200 40000007
	ds_read_b32 v65, v7 offset:16960                           // 000000015540: D86C4240 41000007
	ds_read_b32 v66, v7 offset:17024                           // 000000015548: D86C4280 42000007
	ds_read_b32 v67, v7 offset:17088                           // 000000015550: D86C42C0 43000007
	ds_read_b32 v68, v7 offset:17152                           // 000000015558: D86C4300 44000007
	ds_read_b32 v69, v7 offset:17216                           // 000000015560: D86C4340 45000007
	ds_read_b32 v70, v7 offset:17280                           // 000000015568: D86C4380 46000007
	ds_read_b32 v71, v7 offset:17344                           // 000000015570: D86C43C0 47000007
	ds_read_b32 v72, v7 offset:17408                           // 000000015578: D86C4400 48000007
	ds_read_b32 v73, v7 offset:17472                           // 000000015580: D86C4440 49000007
	ds_read_b32 v74, v7 offset:17536                           // 000000015588: D86C4480 4A000007
	ds_read_b32 v75, v7 offset:17600                           // 000000015590: D86C44C0 4B000007
	ds_read_b32 v76, v7 offset:17664                           // 000000015598: D86C4500 4C000007
	ds_read_b32 v77, v7 offset:17728                           // 0000000155A0: D86C4540 4D000007
	ds_read_b32 v78, v7 offset:17792                           // 0000000155A8: D86C4580 4E000007
	ds_read_b32 v79, v7 offset:17856                           // 0000000155B0: D86C45C0 4F000007
	v_mul_f32_e32 v184, v45, v184                              // 0000000155B8: 0B71712D
	v_mul_f32_e32 v185, v45, v185                              // 0000000155BC: 0B73732D
	v_mul_f32_e32 v186, v45, v186                              // 0000000155C0: 0B75752D
	v_mul_f32_e32 v187, v45, v187                              // 0000000155C4: 0B77772D
	v_mul_f32_e32 v188, v45, v188                              // 0000000155C8: 0B79792D
	v_mul_f32_e32 v189, v45, v189                              // 0000000155CC: 0B7B7B2D
	v_mul_f32_e32 v190, v45, v190                              // 0000000155D0: 0B7D7D2D
	v_mul_f32_e32 v191, v45, v191                              // 0000000155D4: 0B7F7F2D
	s_waitcnt lgkmcnt(0)                                       // 0000000155D8: BF8CC07F
	v_max3_f32 v48, v64, v65, v48                              // 0000000155DC: D1D30030 04C28340
	v_max3_f32 v48, v66, v67, v48                              // 0000000155E4: D1D30030 04C28742
	v_max3_f32 v48, v68, v69, v48                              // 0000000155EC: D1D30030 04C28B44
	v_max3_f32 v48, v70, v71, v48                              // 0000000155F4: D1D30030 04C28F46
	v_max3_f32 v48, v72, v73, v48                              // 0000000155FC: D1D30030 04C29348
	v_max3_f32 v48, v74, v75, v48                              // 000000015604: D1D30030 04C2974A
	v_max3_f32 v48, v76, v77, v48                              // 00000001560C: D1D30030 04C29B4C
	v_max3_f32 v48, v78, v79, v48                              // 000000015614: D1D30030 04C29F4E
	v_mov_b32_e32 v64, 0xff800000                              // 00000001561C: 7E8002FF FF800000
	v_cmp_eq_u32_e64 s[40:41], v64, v12                        // 000000015624: D0CA0028 00021940
	s_nop 1                                                    // 00000001562C: BF800001
	v_max_f32_e32 v15, v48, v12                                // 000000015630: 161E1930
	v_mul_f32_e32 v53, s64, v15                                // 000000015634: 0A6A1E40
	v_fma_f32 v128, v128, s64, -v53                            // 000000015638: D1CB0080 84D48180
	v_fma_f32 v129, v129, s64, -v53                            // 000000015640: D1CB0081 84D48181
	v_fma_f32 v130, v130, s64, -v53                            // 000000015648: D1CB0082 84D48182
	v_fma_f32 v131, v131, s64, -v53                            // 000000015650: D1CB0083 84D48183
	v_fma_f32 v132, v132, s64, -v53                            // 000000015658: D1CB0084 84D48184
	v_fma_f32 v133, v133, s64, -v53                            // 000000015660: D1CB0085 84D48185
	v_fma_f32 v134, v134, s64, -v53                            // 000000015668: D1CB0086 84D48186
	v_fma_f32 v135, v135, s64, -v53                            // 000000015670: D1CB0087 84D48187
	v_fma_f32 v136, v136, s64, -v53                            // 000000015678: D1CB0088 84D48188
	v_fma_f32 v137, v137, s64, -v53                            // 000000015680: D1CB0089 84D48189
	v_fma_f32 v138, v138, s64, -v53                            // 000000015688: D1CB008A 84D4818A
	v_fma_f32 v139, v139, s64, -v53                            // 000000015690: D1CB008B 84D4818B
	v_fma_f32 v140, v140, s64, -v53                            // 000000015698: D1CB008C 84D4818C
	v_fma_f32 v141, v141, s64, -v53                            // 0000000156A0: D1CB008D 84D4818D
	v_fma_f32 v142, v142, s64, -v53                            // 0000000156A8: D1CB008E 84D4818E
	v_fma_f32 v143, v143, s64, -v53                            // 0000000156B0: D1CB008F 84D4818F
	v_exp_f32_e32 v128, v128                                   // 0000000156B8: 7F004180
	v_exp_f32_e32 v129, v129                                   // 0000000156BC: 7F024181
	v_exp_f32_e32 v130, v130                                   // 0000000156C0: 7F044182
	v_exp_f32_e32 v131, v131                                   // 0000000156C4: 7F064183
	v_exp_f32_e32 v132, v132                                   // 0000000156C8: 7F084184
	v_exp_f32_e32 v133, v133                                   // 0000000156CC: 7F0A4185
	v_exp_f32_e32 v134, v134                                   // 0000000156D0: 7F0C4186
	v_exp_f32_e32 v135, v135                                   // 0000000156D4: 7F0E4187
	v_exp_f32_e32 v136, v136                                   // 0000000156D8: 7F104188
	v_exp_f32_e32 v137, v137                                   // 0000000156DC: 7F124189
	v_exp_f32_e32 v138, v138                                   // 0000000156E0: 7F14418A
	v_exp_f32_e32 v139, v139                                   // 0000000156E4: 7F16418B
	v_exp_f32_e32 v140, v140                                   // 0000000156E8: 7F18418C
	v_exp_f32_e32 v141, v141                                   // 0000000156EC: 7F1A418D
	v_exp_f32_e32 v142, v142                                   // 0000000156F0: 7F1C418E
	v_exp_f32_e32 v143, v143                                   // 0000000156F4: 7F1E418F
	v_mul_f32_dpp v240, v252, v128 quad_perm:[0,0,0,0] row_mask:0xf bank_mask:0xf// 0000000156F8: 0BE100FA FF0000FC
	v_mul_f32_dpp v241, v252, v129 quad_perm:[1,1,1,1] row_mask:0xf bank_mask:0xf// 000000015700: 0BE302FA FF0055FC
	v_mul_f32_dpp v242, v252, v130 quad_perm:[2,2,2,2] row_mask:0xf bank_mask:0xf// 000000015708: 0BE504FA FF00AAFC
	v_mul_f32_dpp v243, v252, v131 quad_perm:[3,3,3,3] row_mask:0xf bank_mask:0xf// 000000015710: 0BE706FA FF00FFFC
	v_mul_f32_dpp v244, v253, v132 quad_perm:[0,0,0,0] row_mask:0xf bank_mask:0xf// 000000015718: 0BE908FA FF0000FD
	v_mul_f32_dpp v245, v253, v133 quad_perm:[1,1,1,1] row_mask:0xf bank_mask:0xf// 000000015720: 0BEB0AFA FF0055FD
	v_mul_f32_dpp v246, v253, v134 quad_perm:[2,2,2,2] row_mask:0xf bank_mask:0xf// 000000015728: 0BED0CFA FF00AAFD
	v_mul_f32_dpp v247, v253, v135 quad_perm:[3,3,3,3] row_mask:0xf bank_mask:0xf// 000000015730: 0BEF0EFA FF00FFFD
	v_mul_f32_dpp v248, v254, v136 quad_perm:[0,0,0,0] row_mask:0xf bank_mask:0xf// 000000015738: 0BF110FA FF0000FE
	v_mul_f32_dpp v249, v254, v137 quad_perm:[1,1,1,1] row_mask:0xf bank_mask:0xf// 000000015740: 0BF312FA FF0055FE
	v_mul_f32_dpp v250, v254, v138 quad_perm:[2,2,2,2] row_mask:0xf bank_mask:0xf// 000000015748: 0BF514FA FF00AAFE
	v_mul_f32_dpp v251, v254, v139 quad_perm:[3,3,3,3] row_mask:0xf bank_mask:0xf// 000000015750: 0BF716FA FF00FFFE
	v_mul_f32_dpp v252, v255, v140 quad_perm:[0,0,0,0] row_mask:0xf bank_mask:0xf// 000000015758: 0BF918FA FF0000FF
	v_mul_f32_dpp v253, v255, v141 quad_perm:[1,1,1,1] row_mask:0xf bank_mask:0xf// 000000015760: 0BFB1AFA FF0055FF
	v_mul_f32_dpp v254, v255, v142 quad_perm:[2,2,2,2] row_mask:0xf bank_mask:0xf// 000000015768: 0BFD1CFA FF00AAFF
	v_mul_f32_dpp v255, v255, v143 quad_perm:[3,3,3,3] row_mask:0xf bank_mask:0xf// 000000015770: 0BFF1EFA FF00FFFF
	v_mov_b32_e32 v48, 0x358637bd                              // 000000015778: 7E6002FF 358637BD
	v_max3_f32 v48, |v240|, |v241|, v48                        // 000000015780: D1D30330 04C3E3F0
	v_max3_f32 v48, |v242|, |v243|, v48                        // 000000015788: D1D30330 04C3E7F2
	v_max3_f32 v48, |v244|, |v245|, v48                        // 000000015790: D1D30330 04C3EBF4
	v_max3_f32 v48, |v246|, |v247|, v48                        // 000000015798: D1D30330 04C3EFF6
	v_max3_f32 v48, |v248|, |v249|, v48                        // 0000000157A0: D1D30330 04C3F3F8
	v_max3_f32 v48, |v250|, |v251|, v48                        // 0000000157A8: D1D30330 04C3F7FA
	v_max3_f32 v48, |v252|, |v253|, v48                        // 0000000157B0: D1D30330 04C3FBFC
	v_max3_f32 v48, |v254|, |v255|, v48                        // 0000000157B8: D1D30330 04C3FFFE
	ds_write_b32 v8, v48 offset:20992                          // 0000000157C0: D81A5200 00003008
	v_sub_f32_e32 v50, v12, v15                                // 0000000157C8: 04641F0C
	v_cndmask_b32_e64 v50, v50, 0, s[40:41]                    // 0000000157CC: D1000032 00A10132
	v_mov_b32_e32 v12, v15                                     // 0000000157D4: 7E18030F
	v_mul_f32_e32 v50, s64, v50                                // 0000000157D8: 0A646440
	v_exp_f32_e32 v50, v50                                     // 0000000157DC: 7E644132
	s_waitcnt lgkmcnt(0)                                       // 0000000157E0: BF8CC07F
	s_barrier                                                  // 0000000157E4: BF8A0000
	ds_read_b32 v64, v7 offset:20992                           // 0000000157E8: D86C5200 40000007
	ds_read_b32 v65, v7 offset:21056                           // 0000000157F0: D86C5240 41000007
	ds_read_b32 v66, v7 offset:21120                           // 0000000157F8: D86C5280 42000007
	ds_read_b32 v67, v7 offset:21184                           // 000000015800: D86C52C0 43000007
	ds_read_b32 v68, v7 offset:21248                           // 000000015808: D86C5300 44000007
	ds_read_b32 v69, v7 offset:21312                           // 000000015810: D86C5340 45000007
	ds_read_b32 v70, v7 offset:21376                           // 000000015818: D86C5380 46000007
	ds_read_b32 v71, v7 offset:21440                           // 000000015820: D86C53C0 47000007
	ds_read_b32 v72, v7 offset:21504                           // 000000015828: D86C5400 48000007
	ds_read_b32 v73, v7 offset:21568                           // 000000015830: D86C5440 49000007
	ds_read_b32 v74, v7 offset:21632                           // 000000015838: D86C5480 4A000007
	ds_read_b32 v75, v7 offset:21696                           // 000000015840: D86C54C0 4B000007
	ds_read_b32 v76, v7 offset:21760                           // 000000015848: D86C5500 4C000007
	ds_read_b32 v77, v7 offset:21824                           // 000000015850: D86C5540 4D000007
	ds_read_b32 v78, v7 offset:21888                           // 000000015858: D86C5580 4E000007
	ds_read_b32 v79, v7 offset:21952                           // 000000015860: D86C55C0 4F000007
	v_mul_f32_e32 v39, v50, v39                                // 000000015868: 0A4E4F32
	v_mov_b32_e32 v15, v128                                    // 00000001586C: 7E1E0380
	v_add_f32_e32 v15, v129, v15                               // 000000015870: 021E1F81
	v_add_f32_e32 v15, v130, v15                               // 000000015874: 021E1F82
	v_add_f32_e32 v15, v131, v15                               // 000000015878: 021E1F83
	v_add_f32_e32 v15, v132, v15                               // 00000001587C: 021E1F84
	v_add_f32_e32 v15, v133, v15                               // 000000015880: 021E1F85
	v_add_f32_e32 v15, v134, v15                               // 000000015884: 021E1F86
	v_add_f32_e32 v15, v135, v15                               // 000000015888: 021E1F87
	v_add_f32_e32 v15, v136, v15                               // 00000001588C: 021E1F88
	v_add_f32_e32 v15, v137, v15                               // 000000015890: 021E1F89
	v_add_f32_e32 v15, v138, v15                               // 000000015894: 021E1F8A
	v_add_f32_e32 v15, v139, v15                               // 000000015898: 021E1F8B
	v_add_f32_e32 v15, v140, v15                               // 00000001589C: 021E1F8C
	v_add_f32_e32 v15, v141, v15                               // 0000000158A0: 021E1F8D
	v_add_f32_e32 v15, v142, v15                               // 0000000158A4: 021E1F8E
	v_add_f32_e32 v15, v143, v15                               // 0000000158A8: 021E1F8F
	v_add_f32_e32 v39, v15, v39                                // 0000000158AC: 024E4F0F
	s_waitcnt lgkmcnt(0)                                       // 0000000158B0: BF8CC07F
	v_max3_f32 v48, |v64|, |v65|, v48                          // 0000000158B4: D1D30330 04C28340
	v_max3_f32 v48, |v66|, |v67|, v48                          // 0000000158BC: D1D30330 04C28742
	v_max3_f32 v48, |v68|, |v69|, v48                          // 0000000158C4: D1D30330 04C28B44
	v_max3_f32 v48, |v70|, |v71|, v48                          // 0000000158CC: D1D30330 04C28F46
	v_max3_f32 v48, |v72|, |v73|, v48                          // 0000000158D4: D1D30330 04C29348
	v_max3_f32 v48, |v74|, |v75|, v48                          // 0000000158DC: D1D30330 04C2974A
	v_max3_f32 v48, |v76|, |v77|, v48                          // 0000000158E4: D1D30330 04C29B4C
	v_max3_f32 v48, |v78|, |v79|, v48                          // 0000000158EC: D1D30330 04C29F4E
	s_nop 2                                                    // 0000000158F4: BF800002
	v_rcp_f32_e32 v48, v48                                     // 0000000158F8: 7E604530
	s_nop 1                                                    // 0000000158FC: BF800001
	v_mul_f32_e32 v48, 0x43700000, v48                         // 000000015900: 0A6060FF 43700000
	v_mul_f32_e32 v128, v48, v240                              // 000000015908: 0B01E130
	v_mul_f32_e32 v129, v48, v241                              // 00000001590C: 0B03E330
	v_mul_f32_e32 v130, v48, v242                              // 000000015910: 0B05E530
	v_mul_f32_e32 v131, v48, v243                              // 000000015914: 0B07E730
	v_mul_f32_e32 v132, v48, v244                              // 000000015918: 0B09E930
	v_mul_f32_e32 v133, v48, v245                              // 00000001591C: 0B0BEB30
	v_mul_f32_e32 v134, v48, v246                              // 000000015920: 0B0DED30
	v_mul_f32_e32 v135, v48, v247                              // 000000015924: 0B0FEF30
	v_mul_f32_e32 v136, v48, v248                              // 000000015928: 0B11F130
	v_mul_f32_e32 v137, v48, v249                              // 00000001592C: 0B13F330
	v_mul_f32_e32 v138, v48, v250                              // 000000015930: 0B15F530
	v_mul_f32_e32 v139, v48, v251                              // 000000015934: 0B17F730
	v_mul_f32_e32 v140, v48, v252                              // 000000015938: 0B19F930
	v_mul_f32_e32 v141, v48, v253                              // 00000001593C: 0B1BFB30
	v_mul_f32_e32 v142, v48, v254                              // 000000015940: 0B1DFD30
	v_mul_f32_e32 v143, v48, v255                              // 000000015944: 0B1FFF30
	v_cvt_pk_fp8_f32 v128, v128, v129                          // 000000015948: D2A20080 00030380
	v_cvt_pk_fp8_f32 v128, v130, v131 op_sel:[0,0,1]           // 000000015950: D2A24080 00030782
	v_cvt_pk_fp8_f32 v129, v132, v133                          // 000000015958: D2A20081 00030B84
	v_cvt_pk_fp8_f32 v129, v134, v135 op_sel:[0,0,1]           // 000000015960: D2A24081 00030F86
	v_cvt_pk_fp8_f32 v130, v136, v137                          // 000000015968: D2A20082 00031388
	v_cvt_pk_fp8_f32 v130, v138, v139 op_sel:[0,0,1]           // 000000015970: D2A24082 0003178A
	v_cvt_pk_fp8_f32 v131, v140, v141                          // 000000015978: D2A20083 00031B8C
	v_cvt_pk_fp8_f32 v131, v142, v143 op_sel:[0,0,1]           // 000000015980: D2A24083 00031F8E
	ds_write_b32 v10, v128 offset:29184                        // 000000015988: D81A7200 0000800A
	ds_write_b32 v10, v129 offset:30208                        // 000000015990: D81A7600 0000810A
	ds_write_b32 v10, v130 offset:31232                        // 000000015998: D81A7A00 0000820A
	ds_write_b32 v10, v131 offset:32256                        // 0000000159A0: D81A7E00 0000830A
	v_add_f32_e32 v216, v216, v184                             // 0000000159A8: 03B171D8
	v_add_f32_e32 v217, v217, v185                             // 0000000159AC: 03B373D9
	v_add_f32_e32 v218, v218, v186                             // 0000000159B0: 03B575DA
	v_add_f32_e32 v219, v219, v187                             // 0000000159B4: 03B777DB
	v_add_f32_e32 v220, v220, v188                             // 0000000159B8: 03B979DC
	v_add_f32_e32 v221, v221, v189                             // 0000000159BC: 03BB7BDD
	v_add_f32_e32 v222, v222, v190                             // 0000000159C0: 03BD7DDE
	v_add_f32_e32 v223, v223, v191                             // 0000000159C4: 03BF7FDF
	v_rcp_f32_e32 v45, v48                                     // 0000000159C8: 7E5A4530
	s_waitcnt lgkmcnt(0)                                       // 0000000159CC: BF8CC07F
	s_barrier                                                  // 0000000159D0: BF8A0000
	ds_read_b64 v[128:129], v9 offset:29184                    // 0000000159D4: D8EC7200 80000009
	ds_read_b64 v[130:131], v9 offset:29312                    // 0000000159DC: D8EC7280 82000009
	ds_read_b64 v[132:133], v9 offset:30208                    // 0000000159E4: D8EC7600 84000009
	ds_read_b64 v[134:135], v9 offset:30336                    // 0000000159EC: D8EC7680 86000009
	ds_read_b64 v[136:137], v9 offset:31232                    // 0000000159F4: D8EC7A00 88000009
	ds_read_b64 v[138:139], v9 offset:31360                    // 0000000159FC: D8EC7A80 8A000009
	ds_read_b64 v[140:141], v9 offset:32256                    // 000000015A04: D8EC7E00 8C000009
	ds_read_b64 v[142:143], v9 offset:32384                    // 000000015A0C: D8EC7E80 8E000009
	v_mov_b32_dpp v64, v42 row_shr:4 row_mask:0xf bank_mask:0xf// 000000015A14: 7E8002FA FF01142A
	v_mov_b32_dpp v65, v42 row_shl:4 row_mask:0xf bank_mask:0xf// 000000015A1C: 7E8202FA FF01042A
	v_cndmask_b32_e64 v248, v42, v64, s[44:45]                 // 000000015A24: D10000F8 00B2812A
	v_cndmask_b32_e64 v249, v65, v42, s[44:45]                 // 000000015A2C: D10000F9 00B25541
	v_mov_b32_dpp v64, v248 row_shr:8 row_mask:0xf bank_mask:0xf// 000000015A34: 7E8002FA FF0118F8
	v_mov_b32_dpp v65, v248 row_shl:8 row_mask:0xf bank_mask:0xf// 000000015A3C: 7E8202FA FF0108F8
	v_mov_b32_dpp v66, v249 row_shr:8 row_mask:0xf bank_mask:0xf// 000000015A44: 7E8402FA FF0118F9
	v_mov_b32_dpp v67, v249 row_shl:8 row_mask:0xf bank_mask:0xf// 000000015A4C: 7E8602FA FF0108F9
	v_mov_b32_e32 v68, v248                                    // 000000015A54: 7E8803F8
	v_mov_b32_e32 v69, v249                                    // 000000015A58: 7E8A03F9
	v_cndmask_b32_e64 v248, v68, v64, s[42:43]                 // 000000015A5C: D10000F8 00AA8144
	v_cndmask_b32_e64 v250, v68, v65, s[78:79]                 // 000000015A64: D10000FA 013A8344
	v_cndmask_b32_e64 v249, v69, v66, s[42:43]                 // 000000015A6C: D10000F9 00AA8545
	v_cndmask_b32_e64 v251, v69, v67, s[78:79]                 // 000000015A74: D10000FB 013A8745
	v_mov_b32_dpp v64, v57 row_shr:4 row_mask:0xf bank_mask:0xf// 000000015A7C: 7E8002FA FF011439
	v_mov_b32_dpp v65, v57 row_shl:4 row_mask:0xf bank_mask:0xf// 000000015A84: 7E8202FA FF010439
	v_cndmask_b32_e64 v252, v57, v64, s[44:45]                 // 000000015A8C: D10000FC 00B28139
	v_cndmask_b32_e64 v253, v65, v57, s[44:45]                 // 000000015A94: D10000FD 00B27341
	v_mov_b32_dpp v64, v252 row_shr:8 row_mask:0xf bank_mask:0xf// 000000015A9C: 7E8002FA FF0118FC
	v_mov_b32_dpp v65, v252 row_shl:8 row_mask:0xf bank_mask:0xf// 000000015AA4: 7E8202FA FF0108FC
	v_mov_b32_dpp v66, v253 row_shr:8 row_mask:0xf bank_mask:0xf// 000000015AAC: 7E8402FA FF0118FD
	v_mov_b32_dpp v67, v253 row_shl:8 row_mask:0xf bank_mask:0xf// 000000015AB4: 7E8602FA FF0108FD
	v_mov_b32_e32 v68, v252                                    // 000000015ABC: 7E8803FC
	v_mov_b32_e32 v69, v253                                    // 000000015AC0: 7E8A03FD
	v_cndmask_b32_e64 v252, v68, v64, s[42:43]                 // 000000015AC4: D10000FC 00AA8144
	v_cndmask_b32_e64 v254, v68, v65, s[78:79]                 // 000000015ACC: D10000FE 013A8344
	v_cndmask_b32_e64 v253, v69, v66, s[42:43]                 // 000000015AD4: D10000FD 00AA8545
	v_cndmask_b32_e64 v255, v69, v67, s[78:79]                 // 000000015ADC: D10000FF 013A8745
	v_mul_f32_e32 v144, v20, v144                              // 000000015AE4: 0B212114
	v_mul_f32_e32 v145, v20, v145                              // 000000015AE8: 0B232314
	v_mul_f32_e32 v146, v20, v146                              // 000000015AEC: 0B252514
	v_mul_f32_e32 v147, v20, v147                              // 000000015AF0: 0B272714
	v_mul_f32_e32 v148, v20, v148                              // 000000015AF4: 0B292914
	v_mul_f32_e32 v149, v20, v149                              // 000000015AF8: 0B2B2B14
	v_mul_f32_e32 v150, v20, v150                              // 000000015AFC: 0B2D2D14
	v_mul_f32_e32 v151, v20, v151                              // 000000015B00: 0B2F2F14
	v_mul_f32_e32 v152, v20, v152                              // 000000015B04: 0B313114
	v_mul_f32_e32 v153, v20, v153                              // 000000015B08: 0B333314
	v_mul_f32_e32 v154, v20, v154                              // 000000015B0C: 0B353514
	v_mul_f32_e32 v155, v20, v155                              // 000000015B10: 0B373714
	v_mul_f32_e32 v156, v20, v156                              // 000000015B14: 0B393914
	v_mul_f32_e32 v157, v20, v157                              // 000000015B18: 0B3B3B14
	v_mul_f32_e32 v158, v20, v158                              // 000000015B1C: 0B3D3D14
	v_mul_f32_e32 v159, v20, v159                              // 000000015B20: 0B3F3F14
	v_mul_f32_dpp v144, v248, v144 quad_perm:[0,0,0,0] row_mask:0xf bank_mask:0xf// 000000015B24: 0B2120FA FF0000F8
	v_mul_f32_dpp v145, v248, v145 quad_perm:[1,1,1,1] row_mask:0xf bank_mask:0xf// 000000015B2C: 0B2322FA FF0055F8
	v_mul_f32_dpp v146, v248, v146 quad_perm:[2,2,2,2] row_mask:0xf bank_mask:0xf// 000000015B34: 0B2524FA FF00AAF8
	v_mul_f32_dpp v147, v248, v147 quad_perm:[3,3,3,3] row_mask:0xf bank_mask:0xf// 000000015B3C: 0B2726FA FF00FFF8
	v_mul_f32_dpp v148, v249, v148 quad_perm:[0,0,0,0] row_mask:0xf bank_mask:0xf// 000000015B44: 0B2928FA FF0000F9
	v_mul_f32_dpp v149, v249, v149 quad_perm:[1,1,1,1] row_mask:0xf bank_mask:0xf// 000000015B4C: 0B2B2AFA FF0055F9
	v_mul_f32_dpp v150, v249, v150 quad_perm:[2,2,2,2] row_mask:0xf bank_mask:0xf// 000000015B54: 0B2D2CFA FF00AAF9
	v_mul_f32_dpp v151, v249, v151 quad_perm:[3,3,3,3] row_mask:0xf bank_mask:0xf// 000000015B5C: 0B2F2EFA FF00FFF9
	v_mul_f32_dpp v152, v250, v152 quad_perm:[0,0,0,0] row_mask:0xf bank_mask:0xf// 000000015B64: 0B3130FA FF0000FA
	v_mul_f32_dpp v153, v250, v153 quad_perm:[1,1,1,1] row_mask:0xf bank_mask:0xf// 000000015B6C: 0B3332FA FF0055FA
	v_mul_f32_dpp v154, v250, v154 quad_perm:[2,2,2,2] row_mask:0xf bank_mask:0xf// 000000015B74: 0B3534FA FF00AAFA
	v_mul_f32_dpp v155, v250, v155 quad_perm:[3,3,3,3] row_mask:0xf bank_mask:0xf// 000000015B7C: 0B3736FA FF00FFFA
	v_mul_f32_dpp v156, v251, v156 quad_perm:[0,0,0,0] row_mask:0xf bank_mask:0xf// 000000015B84: 0B3938FA FF0000FB
	v_mul_f32_dpp v157, v251, v157 quad_perm:[1,1,1,1] row_mask:0xf bank_mask:0xf// 000000015B8C: 0B3B3AFA FF0055FB
	v_mul_f32_dpp v158, v251, v158 quad_perm:[2,2,2,2] row_mask:0xf bank_mask:0xf// 000000015B94: 0B3D3CFA FF00AAFB
	v_mul_f32_dpp v159, v251, v159 quad_perm:[3,3,3,3] row_mask:0xf bank_mask:0xf// 000000015B9C: 0B3F3EFA FF00FFFB
	s_cmp_le_i32 s90, s89                                      // 000000015BA4: BF05595A
	s_cbranch_scc1 label_4EDC                                  // 000000015BA8: BF850071
	v_mov_b32_e32 v66, 0xff800000                              // 000000015BAC: 7E8402FF FF800000
	s_mov_b32 s60, s90                                         // 000000015BB4: BEBC005A
	s_add_u32 s61, s89, 0xff                                   // 000000015BB8: 803DFF59 000000FF
	v_mov_b32_e32 v64, s61                                     // 000000015BC0: 7E80023D
	v_lshrrev_b32_e32 v240, 4, v0                              // 000000015BC4: 21E00084
	v_mul_i32_i24_e32 v240, 4, v240                            // 000000015BC8: 0DE1E084
	v_add_u32_e32 v240, s60, v240                              // 000000015BCC: 69E1E03C
	s_mov_b32 s61, 2                                           // 000000015BD0: BEBD0082
	s_mul_i32 s60, 16, s7                                      // 000000015BD4: 923C0790
	v_sub_u32_e64 v240, v240, s61                              // 000000015BD8: D13500F0 00007BF0
	v_add_u32_e32 v240, s60, v240                              // 000000015BE0: 69E1E03C
	v_add_u32_e32 v241, 1, v240                                // 000000015BE4: 69E3E081
	v_add_u32_e32 v242, 2, v240                                // 000000015BE8: 69E5E082
	v_add_u32_e32 v243, 3, v240                                // 000000015BEC: 69E7E083
	v_cmp_le_u32_e64 s[40:41], v240, v64                       // 000000015BF0: D0CB0028 000281F0
	v_add_u32_e32 v240, 64, v240                               // 000000015BF8: 69E1E0C0
	s_nop 0                                                    // 000000015BFC: BF800000
	v_cndmask_b32_e64 v144, v66, v144, s[40:41]                // 000000015C00: D1000090 00A32142
	v_cmp_le_u32_e64 s[40:41], v241, v64                       // 000000015C08: D0CB0028 000281F1
	v_add_u32_e32 v241, 64, v241                               // 000000015C10: 69E3E2C0
	s_nop 0                                                    // 000000015C14: BF800000
	v_cndmask_b32_e64 v145, v66, v145, s[40:41]                // 000000015C18: D1000091 00A32342
	v_cmp_le_u32_e64 s[40:41], v242, v64                       // 000000015C20: D0CB0028 000281F2
	v_add_u32_e32 v242, 64, v242                               // 000000015C28: 69E5E4C0
	s_nop 0                                                    // 000000015C2C: BF800000
	v_cndmask_b32_e64 v146, v66, v146, s[40:41]                // 000000015C30: D1000092 00A32542
	v_cmp_le_u32_e64 s[40:41], v243, v64                       // 000000015C38: D0CB0028 000281F3
	v_add_u32_e32 v243, 64, v243                               // 000000015C40: 69E7E6C0
	s_nop 0                                                    // 000000015C44: BF800000
	v_cndmask_b32_e64 v147, v66, v147, s[40:41]                // 000000015C48: D1000093 00A32742
	v_cmp_le_u32_e64 s[40:41], v240, v64                       // 000000015C50: D0CB0028 000281F0
	v_add_u32_e32 v240, 64, v240                               // 000000015C58: 69E1E0C0
	s_nop 0                                                    // 000000015C5C: BF800000
	v_cndmask_b32_e64 v148, v66, v148, s[40:41]                // 000000015C60: D1000094 00A32942
	v_cmp_le_u32_e64 s[40:41], v241, v64                       // 000000015C68: D0CB0028 000281F1
	v_add_u32_e32 v241, 64, v241                               // 000000015C70: 69E3E2C0
	s_nop 0                                                    // 000000015C74: BF800000
	v_cndmask_b32_e64 v149, v66, v149, s[40:41]                // 000000015C78: D1000095 00A32B42
	v_cmp_le_u32_e64 s[40:41], v242, v64                       // 000000015C80: D0CB0028 000281F2
	v_add_u32_e32 v242, 64, v242                               // 000000015C88: 69E5E4C0
	s_nop 0                                                    // 000000015C8C: BF800000
	v_cndmask_b32_e64 v150, v66, v150, s[40:41]                // 000000015C90: D1000096 00A32D42
	v_cmp_le_u32_e64 s[40:41], v243, v64                       // 000000015C98: D0CB0028 000281F3
	v_add_u32_e32 v243, 64, v243                               // 000000015CA0: 69E7E6C0
	s_nop 0                                                    // 000000015CA4: BF800000
	v_cndmask_b32_e64 v151, v66, v151, s[40:41]                // 000000015CA8: D1000097 00A32F42
	v_cmp_le_u32_e64 s[40:41], v240, v64                       // 000000015CB0: D0CB0028 000281F0
	v_add_u32_e32 v240, 64, v240                               // 000000015CB8: 69E1E0C0
	s_nop 0                                                    // 000000015CBC: BF800000
	v_cndmask_b32_e64 v152, v66, v152, s[40:41]                // 000000015CC0: D1000098 00A33142
	v_cmp_le_u32_e64 s[40:41], v241, v64                       // 000000015CC8: D0CB0028 000281F1
	v_add_u32_e32 v241, 64, v241                               // 000000015CD0: 69E3E2C0
	s_nop 0                                                    // 000000015CD4: BF800000
	v_cndmask_b32_e64 v153, v66, v153, s[40:41]                // 000000015CD8: D1000099 00A33342
	v_cmp_le_u32_e64 s[40:41], v242, v64                       // 000000015CE0: D0CB0028 000281F2
	v_add_u32_e32 v242, 64, v242                               // 000000015CE8: 69E5E4C0
	s_nop 0                                                    // 000000015CEC: BF800000
	v_cndmask_b32_e64 v154, v66, v154, s[40:41]                // 000000015CF0: D100009A 00A33542
	v_cmp_le_u32_e64 s[40:41], v243, v64                       // 000000015CF8: D0CB0028 000281F3
	v_add_u32_e32 v243, 64, v243                               // 000000015D00: 69E7E6C0
	s_nop 0                                                    // 000000015D04: BF800000
	v_cndmask_b32_e64 v155, v66, v155, s[40:41]                // 000000015D08: D100009B 00A33742
	v_cmp_le_u32_e64 s[40:41], v240, v64                       // 000000015D10: D0CB0028 000281F0
	v_add_u32_e32 v240, 64, v240                               // 000000015D18: 69E1E0C0
	s_nop 0                                                    // 000000015D1C: BF800000
	v_cndmask_b32_e64 v156, v66, v156, s[40:41]                // 000000015D20: D100009C 00A33942
	v_cmp_le_u32_e64 s[40:41], v241, v64                       // 000000015D28: D0CB0028 000281F1
	v_add_u32_e32 v241, 64, v241                               // 000000015D30: 69E3E2C0
	s_nop 0                                                    // 000000015D34: BF800000
	v_cndmask_b32_e64 v157, v66, v157, s[40:41]                // 000000015D38: D100009D 00A33B42
	v_cmp_le_u32_e64 s[40:41], v242, v64                       // 000000015D40: D0CB0028 000281F2
	v_add_u32_e32 v242, 64, v242                               // 000000015D48: 69E5E4C0
	s_nop 0                                                    // 000000015D4C: BF800000
	v_cndmask_b32_e64 v158, v66, v158, s[40:41]                // 000000015D50: D100009E 00A33D42
	v_cmp_le_u32_e64 s[40:41], v243, v64                       // 000000015D58: D0CB0028 000281F3
	v_add_u32_e32 v243, 64, v243                               // 000000015D60: 69E7E6C0
	s_nop 0                                                    // 000000015D64: BF800000
	v_cndmask_b32_e64 v159, v66, v159, s[40:41]                // 000000015D68: D100009F 00A33F42

0000000000015d70 <label_4EDC>:
	s_add_u32 s90, s91, s90                                    // 000000015D70: 805A5A5B
	v_mov_b32_e32 v48, v144                                    // 000000015D74: 7E600390
	v_max3_f32 v48, v144, v145, v48                            // 000000015D78: D1D30030 04C32390
	v_max3_f32 v48, v146, v147, v48                            // 000000015D80: D1D30030 04C32792
	v_max3_f32 v48, v148, v149, v48                            // 000000015D88: D1D30030 04C32B94
	v_max3_f32 v48, v150, v151, v48                            // 000000015D90: D1D30030 04C32F96
	v_max3_f32 v48, v152, v153, v48                            // 000000015D98: D1D30030 04C33398
	v_max3_f32 v48, v154, v155, v48                            // 000000015DA0: D1D30030 04C3379A
	v_max3_f32 v48, v156, v157, v48                            // 000000015DA8: D1D30030 04C33B9C
	v_max3_f32 v48, v158, v159, v48                            // 000000015DB0: D1D30030 04C33F9E
	ds_write_b32 v8, v48 offset:16896                          // 000000015DB8: D81A4200 00003008
	v_mul_f32_e32 v224, v51, v224                              // 000000015DC0: 0BC1C133
	v_mul_f32_e32 v225, v51, v225                              // 000000015DC4: 0BC3C333
	v_mul_f32_e32 v226, v51, v226                              // 000000015DC8: 0BC5C533
	v_mul_f32_e32 v227, v51, v227                              // 000000015DCC: 0BC7C733
	v_mul_f32_e32 v228, v51, v228                              // 000000015DD0: 0BC9C933
	v_mul_f32_e32 v229, v51, v229                              // 000000015DD4: 0BCBCB33
	v_mul_f32_e32 v230, v51, v230                              // 000000015DD8: 0BCDCD33
	v_mul_f32_e32 v231, v51, v231                              // 000000015DDC: 0BCFCF33
	s_waitcnt lgkmcnt(0)                                       // 000000015DE0: BF8CC07F
	s_barrier                                                  // 000000015DE4: BF8A0000
	ds_read_b32 v64, v7 offset:16896                           // 000000015DE8: D86C4200 40000007
	ds_read_b32 v65, v7 offset:16960                           // 000000015DF0: D86C4240 41000007
	ds_read_b32 v66, v7 offset:17024                           // 000000015DF8: D86C4280 42000007
	ds_read_b32 v67, v7 offset:17088                           // 000000015E00: D86C42C0 43000007
	ds_read_b32 v68, v7 offset:17152                           // 000000015E08: D86C4300 44000007
	ds_read_b32 v69, v7 offset:17216                           // 000000015E10: D86C4340 45000007
	ds_read_b32 v70, v7 offset:17280                           // 000000015E18: D86C4380 46000007
	ds_read_b32 v71, v7 offset:17344                           // 000000015E20: D86C43C0 47000007
	ds_read_b32 v72, v7 offset:17408                           // 000000015E28: D86C4400 48000007
	ds_read_b32 v73, v7 offset:17472                           // 000000015E30: D86C4440 49000007
	ds_read_b32 v74, v7 offset:17536                           // 000000015E38: D86C4480 4A000007
	ds_read_b32 v75, v7 offset:17600                           // 000000015E40: D86C44C0 4B000007
	ds_read_b32 v76, v7 offset:17664                           // 000000015E48: D86C4500 4C000007
	ds_read_b32 v77, v7 offset:17728                           // 000000015E50: D86C4540 4D000007
	ds_read_b32 v78, v7 offset:17792                           // 000000015E58: D86C4580 4E000007
	ds_read_b32 v79, v7 offset:17856                           // 000000015E60: D86C45C0 4F000007
	v_mul_f32_e32 v192, v46, v192                              // 000000015E68: 0B81812E
	v_mul_f32_e32 v193, v46, v193                              // 000000015E6C: 0B83832E
	v_mul_f32_e32 v194, v46, v194                              // 000000015E70: 0B85852E
	v_mul_f32_e32 v195, v46, v195                              // 000000015E74: 0B87872E
	v_mul_f32_e32 v196, v46, v196                              // 000000015E78: 0B89892E
	v_mul_f32_e32 v197, v46, v197                              // 000000015E7C: 0B8B8B2E
	v_mul_f32_e32 v198, v46, v198                              // 000000015E80: 0B8D8D2E
	v_mul_f32_e32 v199, v46, v199                              // 000000015E84: 0B8F8F2E
	s_waitcnt lgkmcnt(0)                                       // 000000015E88: BF8CC07F
	v_max3_f32 v48, v64, v65, v48                              // 000000015E8C: D1D30030 04C28340
	v_max3_f32 v48, v66, v67, v48                              // 000000015E94: D1D30030 04C28742
	v_max3_f32 v48, v68, v69, v48                              // 000000015E9C: D1D30030 04C28B44
	v_max3_f32 v48, v70, v71, v48                              // 000000015EA4: D1D30030 04C28F46
	v_max3_f32 v48, v72, v73, v48                              // 000000015EAC: D1D30030 04C29348
	v_max3_f32 v48, v74, v75, v48                              // 000000015EB4: D1D30030 04C2974A
	v_max3_f32 v48, v76, v77, v48                              // 000000015EBC: D1D30030 04C29B4C
	v_max3_f32 v48, v78, v79, v48                              // 000000015EC4: D1D30030 04C29F4E
	v_mov_b32_e32 v64, 0xff800000                              // 000000015ECC: 7E8002FF FF800000
	v_cmp_eq_u32_e64 s[40:41], v64, v13                        // 000000015ED4: D0CA0028 00021B40
	s_nop 1                                                    // 000000015EDC: BF800001
	v_max_f32_e32 v15, v48, v13                                // 000000015EE0: 161E1B30
	v_mul_f32_e32 v53, s64, v15                                // 000000015EE4: 0A6A1E40
	v_fma_f32 v144, v144, s64, -v53                            // 000000015EE8: D1CB0090 84D48190
	v_fma_f32 v145, v145, s64, -v53                            // 000000015EF0: D1CB0091 84D48191
	v_fma_f32 v146, v146, s64, -v53                            // 000000015EF8: D1CB0092 84D48192
	v_fma_f32 v147, v147, s64, -v53                            // 000000015F00: D1CB0093 84D48193
	v_fma_f32 v148, v148, s64, -v53                            // 000000015F08: D1CB0094 84D48194
	v_fma_f32 v149, v149, s64, -v53                            // 000000015F10: D1CB0095 84D48195
	v_fma_f32 v150, v150, s64, -v53                            // 000000015F18: D1CB0096 84D48196
	v_fma_f32 v151, v151, s64, -v53                            // 000000015F20: D1CB0097 84D48197
	v_fma_f32 v152, v152, s64, -v53                            // 000000015F28: D1CB0098 84D48198
	v_fma_f32 v153, v153, s64, -v53                            // 000000015F30: D1CB0099 84D48199
	v_fma_f32 v154, v154, s64, -v53                            // 000000015F38: D1CB009A 84D4819A
	v_fma_f32 v155, v155, s64, -v53                            // 000000015F40: D1CB009B 84D4819B
	v_fma_f32 v156, v156, s64, -v53                            // 000000015F48: D1CB009C 84D4819C
	v_fma_f32 v157, v157, s64, -v53                            // 000000015F50: D1CB009D 84D4819D
	v_fma_f32 v158, v158, s64, -v53                            // 000000015F58: D1CB009E 84D4819E
	v_fma_f32 v159, v159, s64, -v53                            // 000000015F60: D1CB009F 84D4819F
	v_exp_f32_e32 v144, v144                                   // 000000015F68: 7F204190
	v_exp_f32_e32 v145, v145                                   // 000000015F6C: 7F224191
	v_exp_f32_e32 v146, v146                                   // 000000015F70: 7F244192
	v_exp_f32_e32 v147, v147                                   // 000000015F74: 7F264193
	v_exp_f32_e32 v148, v148                                   // 000000015F78: 7F284194
	v_exp_f32_e32 v149, v149                                   // 000000015F7C: 7F2A4195
	v_exp_f32_e32 v150, v150                                   // 000000015F80: 7F2C4196
	v_exp_f32_e32 v151, v151                                   // 000000015F84: 7F2E4197
	v_exp_f32_e32 v152, v152                                   // 000000015F88: 7F304198
	v_exp_f32_e32 v153, v153                                   // 000000015F8C: 7F324199
	v_exp_f32_e32 v154, v154                                   // 000000015F90: 7F34419A
	v_exp_f32_e32 v155, v155                                   // 000000015F94: 7F36419B
	v_exp_f32_e32 v156, v156                                   // 000000015F98: 7F38419C
	v_exp_f32_e32 v157, v157                                   // 000000015F9C: 7F3A419D
	v_exp_f32_e32 v158, v158                                   // 000000015FA0: 7F3C419E
	v_exp_f32_e32 v159, v159                                   // 000000015FA4: 7F3E419F
	v_mul_f32_dpp v240, v252, v144 quad_perm:[0,0,0,0] row_mask:0xf bank_mask:0xf// 000000015FA8: 0BE120FA FF0000FC
	v_mul_f32_dpp v241, v252, v145 quad_perm:[1,1,1,1] row_mask:0xf bank_mask:0xf// 000000015FB0: 0BE322FA FF0055FC
	v_mul_f32_dpp v242, v252, v146 quad_perm:[2,2,2,2] row_mask:0xf bank_mask:0xf// 000000015FB8: 0BE524FA FF00AAFC
	v_mul_f32_dpp v243, v252, v147 quad_perm:[3,3,3,3] row_mask:0xf bank_mask:0xf// 000000015FC0: 0BE726FA FF00FFFC
	v_mul_f32_dpp v244, v253, v148 quad_perm:[0,0,0,0] row_mask:0xf bank_mask:0xf// 000000015FC8: 0BE928FA FF0000FD
	v_mul_f32_dpp v245, v253, v149 quad_perm:[1,1,1,1] row_mask:0xf bank_mask:0xf// 000000015FD0: 0BEB2AFA FF0055FD
	v_mul_f32_dpp v246, v253, v150 quad_perm:[2,2,2,2] row_mask:0xf bank_mask:0xf// 000000015FD8: 0BED2CFA FF00AAFD
	v_mul_f32_dpp v247, v253, v151 quad_perm:[3,3,3,3] row_mask:0xf bank_mask:0xf// 000000015FE0: 0BEF2EFA FF00FFFD
	v_mul_f32_dpp v248, v254, v152 quad_perm:[0,0,0,0] row_mask:0xf bank_mask:0xf// 000000015FE8: 0BF130FA FF0000FE
	v_mul_f32_dpp v249, v254, v153 quad_perm:[1,1,1,1] row_mask:0xf bank_mask:0xf// 000000015FF0: 0BF332FA FF0055FE
	v_mul_f32_dpp v250, v254, v154 quad_perm:[2,2,2,2] row_mask:0xf bank_mask:0xf// 000000015FF8: 0BF534FA FF00AAFE
	v_mul_f32_dpp v251, v254, v155 quad_perm:[3,3,3,3] row_mask:0xf bank_mask:0xf// 000000016000: 0BF736FA FF00FFFE
	v_mul_f32_dpp v252, v255, v156 quad_perm:[0,0,0,0] row_mask:0xf bank_mask:0xf// 000000016008: 0BF938FA FF0000FF
	v_mul_f32_dpp v253, v255, v157 quad_perm:[1,1,1,1] row_mask:0xf bank_mask:0xf// 000000016010: 0BFB3AFA FF0055FF
	v_mul_f32_dpp v254, v255, v158 quad_perm:[2,2,2,2] row_mask:0xf bank_mask:0xf// 000000016018: 0BFD3CFA FF00AAFF
	v_mul_f32_dpp v255, v255, v159 quad_perm:[3,3,3,3] row_mask:0xf bank_mask:0xf// 000000016020: 0BFF3EFA FF00FFFF
	v_mov_b32_e32 v48, 0x358637bd                              // 000000016028: 7E6002FF 358637BD
	v_max3_f32 v48, |v240|, |v241|, v48                        // 000000016030: D1D30330 04C3E3F0
	v_max3_f32 v48, |v242|, |v243|, v48                        // 000000016038: D1D30330 04C3E7F2
	v_max3_f32 v48, |v244|, |v245|, v48                        // 000000016040: D1D30330 04C3EBF4
	v_max3_f32 v48, |v246|, |v247|, v48                        // 000000016048: D1D30330 04C3EFF6
	v_max3_f32 v48, |v248|, |v249|, v48                        // 000000016050: D1D30330 04C3F3F8
	v_max3_f32 v48, |v250|, |v251|, v48                        // 000000016058: D1D30330 04C3F7FA
	v_max3_f32 v48, |v252|, |v253|, v48                        // 000000016060: D1D30330 04C3FBFC
	v_max3_f32 v48, |v254|, |v255|, v48                        // 000000016068: D1D30330 04C3FFFE
	ds_write_b32 v8, v48 offset:20992                          // 000000016070: D81A5200 00003008
	v_sub_f32_e32 v51, v13, v15                                // 000000016078: 04661F0D
	v_cndmask_b32_e64 v51, v51, 0, s[40:41]                    // 00000001607C: D1000033 00A10133
	v_mov_b32_e32 v13, v15                                     // 000000016084: 7E1A030F
	v_mul_f32_e32 v51, s64, v51                                // 000000016088: 0A666640
	v_exp_f32_e32 v51, v51                                     // 00000001608C: 7E664133
	s_waitcnt lgkmcnt(0)                                       // 000000016090: BF8CC07F
	s_barrier                                                  // 000000016094: BF8A0000
	ds_read_b32 v64, v7 offset:20992                           // 000000016098: D86C5200 40000007
	ds_read_b32 v65, v7 offset:21056                           // 0000000160A0: D86C5240 41000007
	ds_read_b32 v66, v7 offset:21120                           // 0000000160A8: D86C5280 42000007
	ds_read_b32 v67, v7 offset:21184                           // 0000000160B0: D86C52C0 43000007
	ds_read_b32 v68, v7 offset:21248                           // 0000000160B8: D86C5300 44000007
	ds_read_b32 v69, v7 offset:21312                           // 0000000160C0: D86C5340 45000007
	ds_read_b32 v70, v7 offset:21376                           // 0000000160C8: D86C5380 46000007
	ds_read_b32 v71, v7 offset:21440                           // 0000000160D0: D86C53C0 47000007
	ds_read_b32 v72, v7 offset:21504                           // 0000000160D8: D86C5400 48000007
	ds_read_b32 v73, v7 offset:21568                           // 0000000160E0: D86C5440 49000007
	ds_read_b32 v74, v7 offset:21632                           // 0000000160E8: D86C5480 4A000007
	ds_read_b32 v75, v7 offset:21696                           // 0000000160F0: D86C54C0 4B000007
	ds_read_b32 v76, v7 offset:21760                           // 0000000160F8: D86C5500 4C000007
	ds_read_b32 v77, v7 offset:21824                           // 000000016100: D86C5540 4D000007
	ds_read_b32 v78, v7 offset:21888                           // 000000016108: D86C5580 4E000007
	ds_read_b32 v79, v7 offset:21952                           // 000000016110: D86C55C0 4F000007
	v_mul_f32_e32 v40, v51, v40                                // 000000016118: 0A505133
	v_mov_b32_e32 v15, v144                                    // 00000001611C: 7E1E0390
	v_add_f32_e32 v15, v145, v15                               // 000000016120: 021E1F91
	v_add_f32_e32 v15, v146, v15                               // 000000016124: 021E1F92
	v_add_f32_e32 v15, v147, v15                               // 000000016128: 021E1F93
	v_add_f32_e32 v15, v148, v15                               // 00000001612C: 021E1F94
	v_add_f32_e32 v15, v149, v15                               // 000000016130: 021E1F95
	v_add_f32_e32 v15, v150, v15                               // 000000016134: 021E1F96
	v_add_f32_e32 v15, v151, v15                               // 000000016138: 021E1F97
	v_add_f32_e32 v15, v152, v15                               // 00000001613C: 021E1F98
	v_add_f32_e32 v15, v153, v15                               // 000000016140: 021E1F99
	v_add_f32_e32 v15, v154, v15                               // 000000016144: 021E1F9A
	v_add_f32_e32 v15, v155, v15                               // 000000016148: 021E1F9B
	v_add_f32_e32 v15, v156, v15                               // 00000001614C: 021E1F9C
	v_add_f32_e32 v15, v157, v15                               // 000000016150: 021E1F9D
	v_add_f32_e32 v15, v158, v15                               // 000000016154: 021E1F9E
	v_add_f32_e32 v15, v159, v15                               // 000000016158: 021E1F9F
	v_add_f32_e32 v40, v15, v40                                // 00000001615C: 0250510F
	s_waitcnt lgkmcnt(0)                                       // 000000016160: BF8CC07F
	v_max3_f32 v48, |v64|, |v65|, v48                          // 000000016164: D1D30330 04C28340
	v_max3_f32 v48, |v66|, |v67|, v48                          // 00000001616C: D1D30330 04C28742
	v_max3_f32 v48, |v68|, |v69|, v48                          // 000000016174: D1D30330 04C28B44
	v_max3_f32 v48, |v70|, |v71|, v48                          // 00000001617C: D1D30330 04C28F46
	v_max3_f32 v48, |v72|, |v73|, v48                          // 000000016184: D1D30330 04C29348
	v_max3_f32 v48, |v74|, |v75|, v48                          // 00000001618C: D1D30330 04C2974A
	v_max3_f32 v48, |v76|, |v77|, v48                          // 000000016194: D1D30330 04C29B4C
	v_max3_f32 v48, |v78|, |v79|, v48                          // 00000001619C: D1D30330 04C29F4E
	s_nop 2                                                    // 0000000161A4: BF800002
	v_rcp_f32_e32 v48, v48                                     // 0000000161A8: 7E604530
	s_nop 1                                                    // 0000000161AC: BF800001
	v_mul_f32_e32 v48, 0x43700000, v48                         // 0000000161B0: 0A6060FF 43700000
	v_mul_f32_e32 v144, v48, v240                              // 0000000161B8: 0B21E130
	v_mul_f32_e32 v145, v48, v241                              // 0000000161BC: 0B23E330
	v_mul_f32_e32 v146, v48, v242                              // 0000000161C0: 0B25E530
	v_mul_f32_e32 v147, v48, v243                              // 0000000161C4: 0B27E730
	v_mul_f32_e32 v148, v48, v244                              // 0000000161C8: 0B29E930
	v_mul_f32_e32 v149, v48, v245                              // 0000000161CC: 0B2BEB30
	v_mul_f32_e32 v150, v48, v246                              // 0000000161D0: 0B2DED30
	v_mul_f32_e32 v151, v48, v247                              // 0000000161D4: 0B2FEF30
	v_mul_f32_e32 v152, v48, v248                              // 0000000161D8: 0B31F130
	v_mul_f32_e32 v153, v48, v249                              // 0000000161DC: 0B33F330
	v_mul_f32_e32 v154, v48, v250                              // 0000000161E0: 0B35F530
	v_mul_f32_e32 v155, v48, v251                              // 0000000161E4: 0B37F730
	v_mul_f32_e32 v156, v48, v252                              // 0000000161E8: 0B39F930
	v_mul_f32_e32 v157, v48, v253                              // 0000000161EC: 0B3BFB30
	v_mul_f32_e32 v158, v48, v254                              // 0000000161F0: 0B3DFD30
	v_mul_f32_e32 v159, v48, v255                              // 0000000161F4: 0B3FFF30
	v_cvt_pk_fp8_f32 v144, v144, v145                          // 0000000161F8: D2A20090 00032390
	v_cvt_pk_fp8_f32 v144, v146, v147 op_sel:[0,0,1]           // 000000016200: D2A24090 00032792
	v_cvt_pk_fp8_f32 v145, v148, v149                          // 000000016208: D2A20091 00032B94
	v_cvt_pk_fp8_f32 v145, v150, v151 op_sel:[0,0,1]           // 000000016210: D2A24091 00032F96
	v_cvt_pk_fp8_f32 v146, v152, v153                          // 000000016218: D2A20092 00033398
	v_cvt_pk_fp8_f32 v146, v154, v155 op_sel:[0,0,1]           // 000000016220: D2A24092 0003379A
	v_cvt_pk_fp8_f32 v147, v156, v157                          // 000000016228: D2A20093 00033B9C
	v_cvt_pk_fp8_f32 v147, v158, v159 op_sel:[0,0,1]           // 000000016230: D2A24093 00033F9E
	ds_write_b32 v10, v144 offset:33280                        // 000000016238: D81A8200 0000900A
	ds_write_b32 v10, v145 offset:34304                        // 000000016240: D81A8600 0000910A
	ds_write_b32 v10, v146 offset:35328                        // 000000016248: D81A8A00 0000920A
	ds_write_b32 v10, v147 offset:36352                        // 000000016250: D81A8E00 0000930A
	v_add_f32_e32 v224, v224, v192                             // 000000016258: 03C181E0
	v_add_f32_e32 v225, v225, v193                             // 00000001625C: 03C383E1
	v_add_f32_e32 v226, v226, v194                             // 000000016260: 03C585E2
	v_add_f32_e32 v227, v227, v195                             // 000000016264: 03C787E3
	v_add_f32_e32 v228, v228, v196                             // 000000016268: 03C989E4
	v_add_f32_e32 v229, v229, v197                             // 00000001626C: 03CB8BE5
	v_add_f32_e32 v230, v230, v198                             // 000000016270: 03CD8DE6
	v_add_f32_e32 v231, v231, v199                             // 000000016274: 03CF8FE7
	v_rcp_f32_e32 v46, v48                                     // 000000016278: 7E5C4530
	s_waitcnt lgkmcnt(0)                                       // 00000001627C: BF8CC07F
	s_barrier                                                  // 000000016280: BF8A0000
	ds_read_b64 v[144:145], v9 offset:33280                    // 000000016284: D8EC8200 90000009
	ds_read_b64 v[146:147], v9 offset:33408                    // 00000001628C: D8EC8280 92000009
	ds_read_b64 v[148:149], v9 offset:34304                    // 000000016294: D8EC8600 94000009
	ds_read_b64 v[150:151], v9 offset:34432                    // 00000001629C: D8EC8680 96000009
	ds_read_b64 v[152:153], v9 offset:35328                    // 0000000162A4: D8EC8A00 98000009
	ds_read_b64 v[154:155], v9 offset:35456                    // 0000000162AC: D8EC8A80 9A000009
	ds_read_b64 v[156:157], v9 offset:36352                    // 0000000162B4: D8EC8E00 9C000009
	ds_read_b64 v[158:159], v9 offset:36480                    // 0000000162BC: D8EC8E80 9E000009
	s_waitcnt vmcnt(15)                                        // 0000000162C4: BF8C0F7F
	v_mfma_f32_16x16x32_fp8_fp8 v[176:179], a[64:65], v[112:113], 0// 0000000162C8: D3F300B0 0A02E140
	buffer_load_dwordx4 a[112:115], v34, s[20:23], 0 offen offset:1024// 0000000162D0: E05C1400 80857022
	v_mfma_f32_16x16x32_fp8_fp8 v[176:179], a[66:67], v[114:115], v[176:179]// 0000000162D8: D3F300B0 0EC2E542
	v_mfma_f32_16x16x32_fp8_fp8 v[176:179], a[68:69], v[116:117], v[176:179]// 0000000162E0: D3F300B0 0EC2E944
	v_mfma_f32_16x16x32_fp8_fp8 v[176:179], a[70:71], v[118:119], v[176:179]// 0000000162E8: D3F300B0 0EC2ED46
	v_mfma_f32_16x16x32_fp8_fp8 v[176:179], a[72:73], v[120:121], v[176:179]// 0000000162F0: D3F300B0 0EC2F148
	buffer_load_dwordx4 a[116:119], v35, s[20:23], 0 offen offset:1024// 0000000162F8: E05C1400 80857423
	v_mfma_f32_16x16x32_fp8_fp8 v[176:179], a[74:75], v[122:123], v[176:179]// 000000016300: D3F300B0 0EC2F54A
	v_mfma_f32_16x16x32_fp8_fp8 v[176:179], a[76:77], v[124:125], v[176:179]// 000000016308: D3F300B0 0EC2F94C
	v_mfma_f32_16x16x32_fp8_fp8 v[176:179], a[78:79], v[126:127], v[176:179]// 000000016310: D3F300B0 0EC2FD4E
	v_mfma_f32_16x16x32_fp8_fp8 v[180:183], a[80:81], v[112:113], 0// 000000016318: D3F300B4 0A02E150
	buffer_load_dwordx4 a[120:123], v36, s[20:23], 0 offen offset:1024// 000000016320: E05C1400 80857824
	v_mfma_f32_16x16x32_fp8_fp8 v[180:183], a[82:83], v[114:115], v[180:183]// 000000016328: D3F300B4 0ED2E552
	v_mfma_f32_16x16x32_fp8_fp8 v[180:183], a[84:85], v[116:117], v[180:183]// 000000016330: D3F300B4 0ED2E954
	v_mfma_f32_16x16x32_fp8_fp8 v[180:183], a[86:87], v[118:119], v[180:183]// 000000016338: D3F300B4 0ED2ED56
	v_mfma_f32_16x16x32_fp8_fp8 v[180:183], a[88:89], v[120:121], v[180:183]// 000000016340: D3F300B4 0ED2F158
	buffer_load_dwordx4 a[124:127], v37, s[20:23], 0 offen offset:1024// 000000016348: E05C1400 80857C25
	v_mfma_f32_16x16x32_fp8_fp8 v[180:183], a[90:91], v[122:123], v[180:183]// 000000016350: D3F300B4 0ED2F55A
	v_mfma_f32_16x16x32_fp8_fp8 v[180:183], a[92:93], v[124:125], v[180:183]// 000000016358: D3F300B4 0ED2F95C
	s_lshr_b32 s57, s70, 4                                     // 000000016360: 8F398446
	s_add_u32 s57, 48, s57                                     // 000000016364: 803939B0
	v_mfma_f32_16x16x32_fp8_fp8 v[180:183], a[94:95], v[126:127], v[180:183]// 000000016368: D3F300B4 0ED2FD5E
	s_cmp_ge_u32 s57, s73                                      // 000000016370: BF094939
	s_cselect_b32 s56, 0, s56                                  // 000000016374: 85383880
	v_mfma_f32_16x16x32_fp8_fp8 v[184:187], a[64:65], v[128:129], 0// 000000016378: D3F300B8 0A030140
	v_mfma_f32_16x16x32_fp8_fp8 v[184:187], a[66:67], v[130:131], v[184:187]// 000000016380: D3F300B8 0EE30542
	v_mfma_f32_16x16x32_fp8_fp8 v[184:187], a[68:69], v[132:133], v[184:187]// 000000016388: D3F300B8 0EE30944
	v_mfma_f32_16x16x32_fp8_fp8 v[184:187], a[70:71], v[134:135], v[184:187]// 000000016390: D3F300B8 0EE30D46
	v_mfma_f32_16x16x32_fp8_fp8 v[184:187], a[72:73], v[136:137], v[184:187]// 000000016398: D3F300B8 0EE31148
	v_mfma_f32_16x16x32_fp8_fp8 v[184:187], a[74:75], v[138:139], v[184:187]// 0000000163A0: D3F300B8 0EE3154A
	v_mfma_f32_16x16x32_fp8_fp8 v[184:187], a[76:77], v[140:141], v[184:187]// 0000000163A8: D3F300B8 0EE3194C
	v_mfma_f32_16x16x32_fp8_fp8 v[184:187], a[78:79], v[142:143], v[184:187]// 0000000163B0: D3F300B8 0EE31D4E
	v_mfma_f32_16x16x32_fp8_fp8 v[188:191], a[80:81], v[128:129], 0// 0000000163B8: D3F300BC 0A030150
	v_mfma_f32_16x16x32_fp8_fp8 v[188:191], a[82:83], v[130:131], v[188:191]// 0000000163C0: D3F300BC 0EF30552
	v_mfma_f32_16x16x32_fp8_fp8 v[188:191], a[84:85], v[132:133], v[188:191]// 0000000163C8: D3F300BC 0EF30954
	v_mfma_f32_16x16x32_fp8_fp8 v[188:191], a[86:87], v[134:135], v[188:191]// 0000000163D0: D3F300BC 0EF30D56
	v_mfma_f32_16x16x32_fp8_fp8 v[188:191], a[88:89], v[136:137], v[188:191]// 0000000163D8: D3F300BC 0EF31158
	v_mfma_f32_16x16x32_fp8_fp8 v[188:191], a[90:91], v[138:139], v[188:191]// 0000000163E0: D3F300BC 0EF3155A
	v_mfma_f32_16x16x32_fp8_fp8 v[188:191], a[92:93], v[140:141], v[188:191]// 0000000163E8: D3F300BC 0EF3195C
	v_mfma_f32_16x16x32_fp8_fp8 v[188:191], a[94:95], v[142:143], v[188:191]// 0000000163F0: D3F300BC 0EF31D5E
	v_mfma_f32_16x16x32_fp8_fp8 v[192:195], a[64:65], v[144:145], 0// 0000000163F8: D3F300C0 0A032140
	v_mfma_f32_16x16x32_fp8_fp8 v[192:195], a[66:67], v[146:147], v[192:195]// 000000016400: D3F300C0 0F032542
	v_mfma_f32_16x16x32_fp8_fp8 v[192:195], a[68:69], v[148:149], v[192:195]// 000000016408: D3F300C0 0F032944
	v_mfma_f32_16x16x32_fp8_fp8 v[192:195], a[70:71], v[150:151], v[192:195]// 000000016410: D3F300C0 0F032D46
	v_mfma_f32_16x16x32_fp8_fp8 v[192:195], a[72:73], v[152:153], v[192:195]// 000000016418: D3F300C0 0F033148
	v_mfma_f32_16x16x32_fp8_fp8 v[192:195], a[74:75], v[154:155], v[192:195]// 000000016420: D3F300C0 0F03354A
	v_mfma_f32_16x16x32_fp8_fp8 v[192:195], a[76:77], v[156:157], v[192:195]// 000000016428: D3F300C0 0F03394C
	v_mfma_f32_16x16x32_fp8_fp8 v[192:195], a[78:79], v[158:159], v[192:195]// 000000016430: D3F300C0 0F033D4E
	v_mfma_f32_16x16x32_fp8_fp8 v[196:199], a[80:81], v[144:145], 0// 000000016438: D3F300C4 0A032150
	v_mfma_f32_16x16x32_fp8_fp8 v[196:199], a[82:83], v[146:147], v[196:199]// 000000016440: D3F300C4 0F132552
	v_mfma_f32_16x16x32_fp8_fp8 v[196:199], a[84:85], v[148:149], v[196:199]// 000000016448: D3F300C4 0F132954
	v_mfma_f32_16x16x32_fp8_fp8 v[196:199], a[86:87], v[150:151], v[196:199]// 000000016450: D3F300C4 0F132D56
	v_mfma_f32_16x16x32_fp8_fp8 v[196:199], a[88:89], v[152:153], v[196:199]// 000000016458: D3F300C4 0F133158
	v_mfma_f32_16x16x32_fp8_fp8 v[196:199], a[90:91], v[154:155], v[196:199]// 000000016460: D3F300C4 0F13355A
	v_mfma_f32_16x16x32_fp8_fp8 v[196:199], a[92:93], v[156:157], v[196:199]// 000000016468: D3F300C4 0F13395C
	v_mfma_f32_16x16x32_fp8_fp8 v[196:199], a[94:95], v[158:159], v[196:199]// 000000016470: D3F300C4 0F133D5E
	v_add_u32_e32 v1, s56, v1                                  // 000000016478: 68020238
	s_addk_i32 s70, 0x100                                      // 00000001647C: B7460100
	s_cmp_lt_i32 s70, s71                                      // 000000016480: BF044746
	s_cbranch_scc0 label_490F                                  // 000000016484: BF84F86D
	s_waitcnt vmcnt(8) lgkmcnt(0)                              // 000000016488: BF8C0078
	v_mul_u32_u24_dpp v64, v16, v54 row_newbcast:0 row_mask:0xf bank_mask:0xf// 00000001648C: 10806CFA FF015010
	v_mul_u32_u24_dpp v65, v16, v54 row_newbcast:4 row_mask:0xf bank_mask:0xf// 000000016494: 10826CFA FF015410
	v_mul_u32_u24_dpp v66, v16, v54 row_newbcast:8 row_mask:0xf bank_mask:0xf// 00000001649C: 10846CFA FF015810
	v_mul_u32_u24_dpp v67, v16, v54 row_newbcast:12 row_mask:0xf bank_mask:0xf// 0000000164A4: 10866CFA FF015C10
	v_add_u32_e32 v22, v64, v5                                 // 0000000164AC: 682C0B40
	v_add_u32_e32 v23, v65, v5                                 // 0000000164B0: 682E0B41
	v_add_u32_e32 v24, v66, v5                                 // 0000000164B4: 68300B42
	v_add_u32_e32 v25, v67, v5                                 // 0000000164B8: 68320B43
	v_mul_u32_u24_dpp v64, v16, v63 quad_perm:[0,0,0,0] row_mask:0xf bank_mask:0xf// 0000000164BC: 10807EFA FF000010
	v_add_u32_e32 v2, v64, v59                                 // 0000000164C4: 68047740
	v_mul_u32_u24_dpp v64, v16, v63 quad_perm:[0,0,0,0] row_mask:0xf bank_mask:0xf// 0000000164C8: 10807EFA FF000010
	v_add_u32_e32 v55, v64, v60                                // 0000000164D0: 686E7940
	v_mfma_f32_16x16x32_fp8_fp8 v[112:115], a[32:33], v[80:81], 0// 0000000164D4: D3F30070 0A02A120
	buffer_load_dwordx4 a[0:3], v22, s[16:19], 0 offen         // 0000000164DC: E05C1000 80840016
	v_mfma_f32_16x16x32_fp8_fp8 v[112:115], a[34:35], v[82:83], v[112:115]// 0000000164E4: D3F30070 0DC2A522
	v_mfma_f32_16x16x32_fp8_fp8 v[112:115], a[36:37], v[84:85], v[112:115]// 0000000164EC: D3F30070 0DC2A924
	buffer_load_dword v17, v1, s[24:27], 0 offen               // 0000000164F4: E0501000 80061101
	v_mfma_f32_16x16x32_fp8_fp8 v[112:115], a[38:39], v[86:87], v[112:115]// 0000000164FC: D3F30070 0DC2AD26
	v_mfma_f32_16x16x32_fp8_fp8 v[116:119], a[40:41], v[80:81], 0// 000000016504: D3F30074 0A02A128
	buffer_load_dwordx4 a[4:7], v22, s[16:19], 0 offen offset:1024// 00000001650C: E05C1400 80840416
	v_mfma_f32_16x16x32_fp8_fp8 v[116:119], a[42:43], v[82:83], v[116:119]// 000000016514: D3F30074 0DD2A52A
	v_mfma_f32_16x16x32_fp8_fp8 v[116:119], a[44:45], v[84:85], v[116:119]// 00000001651C: D3F30074 0DD2A92C
	v_mfma_f32_16x16x32_fp8_fp8 v[116:119], a[46:47], v[86:87], v[116:119]// 000000016524: D3F30074 0DD2AD2E
	v_mfma_f32_16x16x32_fp8_fp8 v[120:123], a[48:49], v[80:81], 0// 00000001652C: D3F30078 0A02A130
	buffer_load_dwordx4 a[8:11], v23, s[16:19], 0 offen        // 000000016534: E05C1000 80840817
	v_mfma_f32_16x16x32_fp8_fp8 v[120:123], a[50:51], v[82:83], v[120:123]// 00000001653C: D3F30078 0DE2A532
	v_mfma_f32_16x16x32_fp8_fp8 v[120:123], a[52:53], v[84:85], v[120:123]// 000000016544: D3F30078 0DE2A934
	v_mfma_f32_16x16x32_fp8_fp8 v[120:123], a[54:55], v[86:87], v[120:123]// 00000001654C: D3F30078 0DE2AD36
	v_mfma_f32_16x16x32_fp8_fp8 v[124:127], a[56:57], v[80:81], 0// 000000016554: D3F3007C 0A02A138
	buffer_load_dwordx4 a[12:15], v23, s[16:19], 0 offen offset:1024// 00000001655C: E05C1400 80840C17
	v_mfma_f32_16x16x32_fp8_fp8 v[124:127], a[58:59], v[82:83], v[124:127]// 000000016564: D3F3007C 0DF2A53A
	v_mfma_f32_16x16x32_fp8_fp8 v[124:127], a[60:61], v[84:85], v[124:127]// 00000001656C: D3F3007C 0DF2A93C
	v_mfma_f32_16x16x32_fp8_fp8 v[124:127], a[62:63], v[86:87], v[124:127]// 000000016574: D3F3007C 0DF2AD3E
	v_mfma_f32_16x16x32_fp8_fp8 v[128:131], a[32:33], v[88:89], 0// 00000001657C: D3F30080 0A02B120
	v_mfma_f32_16x16x32_fp8_fp8 v[128:131], a[34:35], v[90:91], v[128:131]// 000000016584: D3F30080 0E02B522
	v_mfma_f32_16x16x32_fp8_fp8 v[128:131], a[36:37], v[92:93], v[128:131]// 00000001658C: D3F30080 0E02B924
	v_mfma_f32_16x16x32_fp8_fp8 v[128:131], a[38:39], v[94:95], v[128:131]// 000000016594: D3F30080 0E02BD26
	v_mfma_f32_16x16x32_fp8_fp8 v[132:135], a[40:41], v[88:89], 0// 00000001659C: D3F30084 0A02B128
	v_mfma_f32_16x16x32_fp8_fp8 v[132:135], a[42:43], v[90:91], v[132:135]// 0000000165A4: D3F30084 0E12B52A
	v_mfma_f32_16x16x32_fp8_fp8 v[132:135], a[44:45], v[92:93], v[132:135]// 0000000165AC: D3F30084 0E12B92C
	v_mfma_f32_16x16x32_fp8_fp8 v[132:135], a[46:47], v[94:95], v[132:135]// 0000000165B4: D3F30084 0E12BD2E
	v_mfma_f32_16x16x32_fp8_fp8 v[136:139], a[48:49], v[88:89], 0// 0000000165BC: D3F30088 0A02B130
	v_mfma_f32_16x16x32_fp8_fp8 v[136:139], a[50:51], v[90:91], v[136:139]// 0000000165C4: D3F30088 0E22B532
	v_mfma_f32_16x16x32_fp8_fp8 v[136:139], a[52:53], v[92:93], v[136:139]// 0000000165CC: D3F30088 0E22B934
	v_mfma_f32_16x16x32_fp8_fp8 v[136:139], a[54:55], v[94:95], v[136:139]// 0000000165D4: D3F30088 0E22BD36
	v_mfma_f32_16x16x32_fp8_fp8 v[140:143], a[56:57], v[88:89], 0// 0000000165DC: D3F3008C 0A02B138
	v_mfma_f32_16x16x32_fp8_fp8 v[140:143], a[58:59], v[90:91], v[140:143]// 0000000165E4: D3F3008C 0E32B53A
	v_mfma_f32_16x16x32_fp8_fp8 v[140:143], a[60:61], v[92:93], v[140:143]// 0000000165EC: D3F3008C 0E32B93C
	v_mfma_f32_16x16x32_fp8_fp8 v[140:143], a[62:63], v[94:95], v[140:143]// 0000000165F4: D3F3008C 0E32BD3E
	v_mfma_f32_16x16x32_fp8_fp8 v[144:147], a[32:33], v[96:97], 0// 0000000165FC: D3F30090 0A02C120
	v_mfma_f32_16x16x32_fp8_fp8 v[144:147], a[34:35], v[98:99], v[144:147]// 000000016604: D3F30090 0E42C522
	v_mfma_f32_16x16x32_fp8_fp8 v[144:147], a[36:37], v[100:101], v[144:147]// 00000001660C: D3F30090 0E42C924
	v_mfma_f32_16x16x32_fp8_fp8 v[144:147], a[38:39], v[102:103], v[144:147]// 000000016614: D3F30090 0E42CD26
	v_mfma_f32_16x16x32_fp8_fp8 v[148:151], a[40:41], v[96:97], 0// 00000001661C: D3F30094 0A02C128
	v_mfma_f32_16x16x32_fp8_fp8 v[148:151], a[42:43], v[98:99], v[148:151]// 000000016624: D3F30094 0E52C52A
	v_mfma_f32_16x16x32_fp8_fp8 v[148:151], a[44:45], v[100:101], v[148:151]// 00000001662C: D3F30094 0E52C92C
	v_mfma_f32_16x16x32_fp8_fp8 v[148:151], a[46:47], v[102:103], v[148:151]// 000000016634: D3F30094 0E52CD2E
	v_mfma_f32_16x16x32_fp8_fp8 v[152:155], a[48:49], v[96:97], 0// 00000001663C: D3F30098 0A02C130
	v_mfma_f32_16x16x32_fp8_fp8 v[152:155], a[50:51], v[98:99], v[152:155]// 000000016644: D3F30098 0E62C532
	v_mfma_f32_16x16x32_fp8_fp8 v[152:155], a[52:53], v[100:101], v[152:155]// 00000001664C: D3F30098 0E62C934
	v_mfma_f32_16x16x32_fp8_fp8 v[152:155], a[54:55], v[102:103], v[152:155]// 000000016654: D3F30098 0E62CD36
	v_mfma_f32_16x16x32_fp8_fp8 v[156:159], a[56:57], v[96:97], 0// 00000001665C: D3F3009C 0A02C138
	v_mfma_f32_16x16x32_fp8_fp8 v[156:159], a[58:59], v[98:99], v[156:159]// 000000016664: D3F3009C 0E72C53A
	v_mfma_f32_16x16x32_fp8_fp8 v[156:159], a[60:61], v[100:101], v[156:159]// 00000001666C: D3F3009C 0E72C93C
	v_mfma_f32_16x16x32_fp8_fp8 v[156:159], a[62:63], v[102:103], v[156:159]// 000000016674: D3F3009C 0E72CD3E
	buffer_load_dword v42, v2, s[32:35], 0 offen               // 00000001667C: E0501000 80082A02
	v_mov_b32_dpp v64, v43 row_shr:4 row_mask:0xf bank_mask:0xf// 000000016684: 7E8002FA FF01142B
	v_mov_b32_dpp v65, v43 row_shl:4 row_mask:0xf bank_mask:0xf// 00000001668C: 7E8202FA FF01042B
	v_cndmask_b32_e64 v248, v43, v64, s[44:45]                 // 000000016694: D10000F8 00B2812B
	v_cndmask_b32_e64 v249, v65, v43, s[44:45]                 // 00000001669C: D10000F9 00B25741
	v_mov_b32_dpp v64, v248 row_shr:8 row_mask:0xf bank_mask:0xf// 0000000166A4: 7E8002FA FF0118F8
	v_mov_b32_dpp v65, v248 row_shl:8 row_mask:0xf bank_mask:0xf// 0000000166AC: 7E8202FA FF0108F8
	v_mov_b32_dpp v66, v249 row_shr:8 row_mask:0xf bank_mask:0xf// 0000000166B4: 7E8402FA FF0118F9
	v_mov_b32_dpp v67, v249 row_shl:8 row_mask:0xf bank_mask:0xf// 0000000166BC: 7E8602FA FF0108F9
	v_mov_b32_e32 v68, v248                                    // 0000000166C4: 7E8803F8
	v_mov_b32_e32 v69, v249                                    // 0000000166C8: 7E8A03F9
	v_cndmask_b32_e64 v248, v68, v64, s[42:43]                 // 0000000166CC: D10000F8 00AA8144
	v_cndmask_b32_e64 v250, v68, v65, s[78:79]                 // 0000000166D4: D10000FA 013A8344
	v_cndmask_b32_e64 v249, v69, v66, s[42:43]                 // 0000000166DC: D10000F9 00AA8545
	v_cndmask_b32_e64 v251, v69, v67, s[78:79]                 // 0000000166E4: D10000FB 013A8745
	v_mov_b32_dpp v64, v58 row_shr:4 row_mask:0xf bank_mask:0xf// 0000000166EC: 7E8002FA FF01143A
	v_mov_b32_dpp v65, v58 row_shl:4 row_mask:0xf bank_mask:0xf// 0000000166F4: 7E8202FA FF01043A
	v_cndmask_b32_e64 v252, v58, v64, s[44:45]                 // 0000000166FC: D10000FC 00B2813A
	v_cndmask_b32_e64 v253, v65, v58, s[44:45]                 // 000000016704: D10000FD 00B27541
	v_mov_b32_dpp v64, v252 row_shr:8 row_mask:0xf bank_mask:0xf// 00000001670C: 7E8002FA FF0118FC
	v_mov_b32_dpp v65, v252 row_shl:8 row_mask:0xf bank_mask:0xf// 000000016714: 7E8202FA FF0108FC
	v_mov_b32_dpp v66, v253 row_shr:8 row_mask:0xf bank_mask:0xf// 00000001671C: 7E8402FA FF0118FD
	v_mov_b32_dpp v67, v253 row_shl:8 row_mask:0xf bank_mask:0xf// 000000016724: 7E8602FA FF0108FD
	v_mov_b32_e32 v68, v252                                    // 00000001672C: 7E8803FC
	v_mov_b32_e32 v69, v253                                    // 000000016730: 7E8A03FD
	v_cndmask_b32_e64 v252, v68, v64, s[42:43]                 // 000000016734: D10000FC 00AA8144
	v_cndmask_b32_e64 v254, v68, v65, s[78:79]                 // 00000001673C: D10000FE 013A8344
	v_cndmask_b32_e64 v253, v69, v66, s[42:43]                 // 000000016744: D10000FD 00AA8545
	v_cndmask_b32_e64 v255, v69, v67, s[78:79]                 // 00000001674C: D10000FF 013A8745
	buffer_load_dword v57, v55, s[36:39], 0 offen              // 000000016754: E0501000 80093937
	v_mul_f32_e32 v112, v18, v112                              // 00000001675C: 0AE0E112
	v_mul_f32_e32 v113, v18, v113                              // 000000016760: 0AE2E312
	v_mul_f32_e32 v114, v18, v114                              // 000000016764: 0AE4E512
	v_mul_f32_e32 v115, v18, v115                              // 000000016768: 0AE6E712
	v_mul_f32_e32 v116, v18, v116                              // 00000001676C: 0AE8E912
	v_mul_f32_e32 v117, v18, v117                              // 000000016770: 0AEAEB12
	v_mul_f32_e32 v118, v18, v118                              // 000000016774: 0AECED12
	v_mul_f32_e32 v119, v18, v119                              // 000000016778: 0AEEEF12
	v_mul_f32_e32 v120, v18, v120                              // 00000001677C: 0AF0F112
	v_mul_f32_e32 v121, v18, v121                              // 000000016780: 0AF2F312
	v_mul_f32_e32 v122, v18, v122                              // 000000016784: 0AF4F512
	v_mul_f32_e32 v123, v18, v123                              // 000000016788: 0AF6F712
	v_mul_f32_e32 v124, v18, v124                              // 00000001678C: 0AF8F912
	v_mul_f32_e32 v125, v18, v125                              // 000000016790: 0AFAFB12
	v_mul_f32_e32 v126, v18, v126                              // 000000016794: 0AFCFD12
	v_mul_f32_e32 v127, v18, v127                              // 000000016798: 0AFEFF12
	buffer_load_dwordx4 a[16:19], v24, s[16:19], 0 offen       // 00000001679C: E05C1000 80841018
	v_mul_f32_dpp v112, v248, v112 quad_perm:[0,0,0,0] row_mask:0xf bank_mask:0xf// 0000000167A4: 0AE0E0FA FF0000F8
	v_mul_f32_dpp v113, v248, v113 quad_perm:[1,1,1,1] row_mask:0xf bank_mask:0xf// 0000000167AC: 0AE2E2FA FF0055F8
	v_mul_f32_dpp v114, v248, v114 quad_perm:[2,2,2,2] row_mask:0xf bank_mask:0xf// 0000000167B4: 0AE4E4FA FF00AAF8
	v_mul_f32_dpp v115, v248, v115 quad_perm:[3,3,3,3] row_mask:0xf bank_mask:0xf// 0000000167BC: 0AE6E6FA FF00FFF8
	v_mul_f32_dpp v116, v249, v116 quad_perm:[0,0,0,0] row_mask:0xf bank_mask:0xf// 0000000167C4: 0AE8E8FA FF0000F9
	v_mul_f32_dpp v117, v249, v117 quad_perm:[1,1,1,1] row_mask:0xf bank_mask:0xf// 0000000167CC: 0AEAEAFA FF0055F9
	v_mul_f32_dpp v118, v249, v118 quad_perm:[2,2,2,2] row_mask:0xf bank_mask:0xf// 0000000167D4: 0AECECFA FF00AAF9
	v_mul_f32_dpp v119, v249, v119 quad_perm:[3,3,3,3] row_mask:0xf bank_mask:0xf// 0000000167DC: 0AEEEEFA FF00FFF9
	v_mul_f32_dpp v120, v250, v120 quad_perm:[0,0,0,0] row_mask:0xf bank_mask:0xf// 0000000167E4: 0AF0F0FA FF0000FA
	v_mul_f32_dpp v121, v250, v121 quad_perm:[1,1,1,1] row_mask:0xf bank_mask:0xf// 0000000167EC: 0AF2F2FA FF0055FA
	v_mul_f32_dpp v122, v250, v122 quad_perm:[2,2,2,2] row_mask:0xf bank_mask:0xf// 0000000167F4: 0AF4F4FA FF00AAFA
	v_mul_f32_dpp v123, v250, v123 quad_perm:[3,3,3,3] row_mask:0xf bank_mask:0xf// 0000000167FC: 0AF6F6FA FF00FFFA
	v_mul_f32_dpp v124, v251, v124 quad_perm:[0,0,0,0] row_mask:0xf bank_mask:0xf// 000000016804: 0AF8F8FA FF0000FB
	v_mul_f32_dpp v125, v251, v125 quad_perm:[1,1,1,1] row_mask:0xf bank_mask:0xf// 00000001680C: 0AFAFAFA FF0055FB
	v_mul_f32_dpp v126, v251, v126 quad_perm:[2,2,2,2] row_mask:0xf bank_mask:0xf// 000000016814: 0AFCFCFA FF00AAFB
	v_mul_f32_dpp v127, v251, v127 quad_perm:[3,3,3,3] row_mask:0xf bank_mask:0xf// 00000001681C: 0AFEFEFA FF00FFFB
	buffer_load_dwordx4 a[20:23], v24, s[16:19], 0 offen offset:1024// 000000016824: E05C1400 80841418
	s_cmp_le_i32 s90, s89                                      // 00000001682C: BF05595A
	s_cbranch_scc1 label_51FE                                  // 000000016830: BF850071
	v_mov_b32_e32 v66, 0xff800000                              // 000000016834: 7E8402FF FF800000
	s_mov_b32 s60, s90                                         // 00000001683C: BEBC005A
	s_add_u32 s61, s89, 0xff                                   // 000000016840: 803DFF59 000000FF
	v_mov_b32_e32 v64, s61                                     // 000000016848: 7E80023D
	v_lshrrev_b32_e32 v240, 4, v0                              // 00000001684C: 21E00084
	v_mul_i32_i24_e32 v240, 4, v240                            // 000000016850: 0DE1E084
	v_add_u32_e32 v240, s60, v240                              // 000000016854: 69E1E03C
	s_mov_b32 s61, 0                                           // 000000016858: BEBD0080
	s_mul_i32 s60, 16, s7                                      // 00000001685C: 923C0790
	v_sub_u32_e64 v240, v240, s61                              // 000000016860: D13500F0 00007BF0
	v_add_u32_e32 v240, s60, v240                              // 000000016868: 69E1E03C
	v_add_u32_e32 v241, 1, v240                                // 00000001686C: 69E3E081
	v_add_u32_e32 v242, 2, v240                                // 000000016870: 69E5E082
	v_add_u32_e32 v243, 3, v240                                // 000000016874: 69E7E083
	v_cmp_le_u32_e64 s[40:41], v240, v64                       // 000000016878: D0CB0028 000281F0
	v_add_u32_e32 v240, 64, v240                               // 000000016880: 69E1E0C0
	s_nop 0                                                    // 000000016884: BF800000
	v_cndmask_b32_e64 v112, v66, v112, s[40:41]                // 000000016888: D1000070 00A2E142
	v_cmp_le_u32_e64 s[40:41], v241, v64                       // 000000016890: D0CB0028 000281F1
	v_add_u32_e32 v241, 64, v241                               // 000000016898: 69E3E2C0
	s_nop 0                                                    // 00000001689C: BF800000
	v_cndmask_b32_e64 v113, v66, v113, s[40:41]                // 0000000168A0: D1000071 00A2E342
	v_cmp_le_u32_e64 s[40:41], v242, v64                       // 0000000168A8: D0CB0028 000281F2
	v_add_u32_e32 v242, 64, v242                               // 0000000168B0: 69E5E4C0
	s_nop 0                                                    // 0000000168B4: BF800000
	v_cndmask_b32_e64 v114, v66, v114, s[40:41]                // 0000000168B8: D1000072 00A2E542
	v_cmp_le_u32_e64 s[40:41], v243, v64                       // 0000000168C0: D0CB0028 000281F3
	v_add_u32_e32 v243, 64, v243                               // 0000000168C8: 69E7E6C0
	s_nop 0                                                    // 0000000168CC: BF800000
	v_cndmask_b32_e64 v115, v66, v115, s[40:41]                // 0000000168D0: D1000073 00A2E742
	v_cmp_le_u32_e64 s[40:41], v240, v64                       // 0000000168D8: D0CB0028 000281F0
	v_add_u32_e32 v240, 64, v240                               // 0000000168E0: 69E1E0C0
	s_nop 0                                                    // 0000000168E4: BF800000
	v_cndmask_b32_e64 v116, v66, v116, s[40:41]                // 0000000168E8: D1000074 00A2E942
	v_cmp_le_u32_e64 s[40:41], v241, v64                       // 0000000168F0: D0CB0028 000281F1
	v_add_u32_e32 v241, 64, v241                               // 0000000168F8: 69E3E2C0
	s_nop 0                                                    // 0000000168FC: BF800000
	v_cndmask_b32_e64 v117, v66, v117, s[40:41]                // 000000016900: D1000075 00A2EB42
	v_cmp_le_u32_e64 s[40:41], v242, v64                       // 000000016908: D0CB0028 000281F2
	v_add_u32_e32 v242, 64, v242                               // 000000016910: 69E5E4C0
	s_nop 0                                                    // 000000016914: BF800000
	v_cndmask_b32_e64 v118, v66, v118, s[40:41]                // 000000016918: D1000076 00A2ED42
	v_cmp_le_u32_e64 s[40:41], v243, v64                       // 000000016920: D0CB0028 000281F3
	v_add_u32_e32 v243, 64, v243                               // 000000016928: 69E7E6C0
	s_nop 0                                                    // 00000001692C: BF800000
	v_cndmask_b32_e64 v119, v66, v119, s[40:41]                // 000000016930: D1000077 00A2EF42
	v_cmp_le_u32_e64 s[40:41], v240, v64                       // 000000016938: D0CB0028 000281F0
	v_add_u32_e32 v240, 64, v240                               // 000000016940: 69E1E0C0
	s_nop 0                                                    // 000000016944: BF800000
	v_cndmask_b32_e64 v120, v66, v120, s[40:41]                // 000000016948: D1000078 00A2F142
	v_cmp_le_u32_e64 s[40:41], v241, v64                       // 000000016950: D0CB0028 000281F1
	v_add_u32_e32 v241, 64, v241                               // 000000016958: 69E3E2C0
	s_nop 0                                                    // 00000001695C: BF800000
	v_cndmask_b32_e64 v121, v66, v121, s[40:41]                // 000000016960: D1000079 00A2F342
	v_cmp_le_u32_e64 s[40:41], v242, v64                       // 000000016968: D0CB0028 000281F2
	v_add_u32_e32 v242, 64, v242                               // 000000016970: 69E5E4C0
	s_nop 0                                                    // 000000016974: BF800000
	v_cndmask_b32_e64 v122, v66, v122, s[40:41]                // 000000016978: D100007A 00A2F542
	v_cmp_le_u32_e64 s[40:41], v243, v64                       // 000000016980: D0CB0028 000281F3
	v_add_u32_e32 v243, 64, v243                               // 000000016988: 69E7E6C0
	s_nop 0                                                    // 00000001698C: BF800000
	v_cndmask_b32_e64 v123, v66, v123, s[40:41]                // 000000016990: D100007B 00A2F742
	v_cmp_le_u32_e64 s[40:41], v240, v64                       // 000000016998: D0CB0028 000281F0
	v_add_u32_e32 v240, 64, v240                               // 0000000169A0: 69E1E0C0
	s_nop 0                                                    // 0000000169A4: BF800000
	v_cndmask_b32_e64 v124, v66, v124, s[40:41]                // 0000000169A8: D100007C 00A2F942
	v_cmp_le_u32_e64 s[40:41], v241, v64                       // 0000000169B0: D0CB0028 000281F1
	v_add_u32_e32 v241, 64, v241                               // 0000000169B8: 69E3E2C0
	s_nop 0                                                    // 0000000169BC: BF800000
	v_cndmask_b32_e64 v125, v66, v125, s[40:41]                // 0000000169C0: D100007D 00A2FB42
	v_cmp_le_u32_e64 s[40:41], v242, v64                       // 0000000169C8: D0CB0028 000281F2
	v_add_u32_e32 v242, 64, v242                               // 0000000169D0: 69E5E4C0
	s_nop 0                                                    // 0000000169D4: BF800000
	v_cndmask_b32_e64 v126, v66, v126, s[40:41]                // 0000000169D8: D100007E 00A2FD42
	v_cmp_le_u32_e64 s[40:41], v243, v64                       // 0000000169E0: D0CB0028 000281F3
	v_add_u32_e32 v243, 64, v243                               // 0000000169E8: 69E7E6C0
	s_nop 0                                                    // 0000000169EC: BF800000
	v_cndmask_b32_e64 v127, v66, v127, s[40:41]                // 0000000169F0: D100007F 00A2FF42

00000000000169f8 <label_51FE>:
	v_mov_b32_e32 v48, v112                                    // 0000000169F8: 7E600370
	v_max3_f32 v48, v112, v113, v48                            // 0000000169FC: D1D30030 04C2E370
	v_max3_f32 v48, v114, v115, v48                            // 000000016A04: D1D30030 04C2E772
	v_max3_f32 v48, v116, v117, v48                            // 000000016A0C: D1D30030 04C2EB74
	v_max3_f32 v48, v118, v119, v48                            // 000000016A14: D1D30030 04C2EF76
	v_max3_f32 v48, v120, v121, v48                            // 000000016A1C: D1D30030 04C2F378
	v_max3_f32 v48, v122, v123, v48                            // 000000016A24: D1D30030 04C2F77A
	v_max3_f32 v48, v124, v125, v48                            // 000000016A2C: D1D30030 04C2FB7C
	v_max3_f32 v48, v126, v127, v48                            // 000000016A34: D1D30030 04C2FF7E
	ds_write_b32 v8, v48 offset:16896                          // 000000016A3C: D81A4200 00003008
	buffer_load_dwordx4 a[24:27], v25, s[16:19], 0 offen       // 000000016A44: E05C1000 80841819
	v_mul_u32_u24_dpp v64, v16, v54 row_newbcast:1 row_mask:0xf bank_mask:0xf// 000000016A4C: 10806CFA FF015110
	v_mul_u32_u24_dpp v65, v16, v54 row_newbcast:5 row_mask:0xf bank_mask:0xf// 000000016A54: 10826CFA FF015510
	v_mul_u32_u24_dpp v66, v16, v54 row_newbcast:9 row_mask:0xf bank_mask:0xf// 000000016A5C: 10846CFA FF015910
	v_mul_u32_u24_dpp v67, v16, v54 row_newbcast:13 row_mask:0xf bank_mask:0xf// 000000016A64: 10866CFA FF015D10
	v_add_u32_e32 v30, v64, v6                                 // 000000016A6C: 683C0D40
	v_add_u32_e32 v31, v65, v6                                 // 000000016A70: 683E0D41
	v_add_u32_e32 v32, v66, v6                                 // 000000016A74: 68400D42
	v_add_u32_e32 v33, v67, v6                                 // 000000016A78: 68420D43
	v_mul_f32_e32 v208, v49, v208                              // 000000016A7C: 0BA1A131
	v_mul_f32_e32 v209, v49, v209                              // 000000016A80: 0BA3A331
	v_mul_f32_e32 v210, v49, v210                              // 000000016A84: 0BA5A531
	v_mul_f32_e32 v211, v49, v211                              // 000000016A88: 0BA7A731
	v_mul_f32_e32 v212, v49, v212                              // 000000016A8C: 0BA9A931
	v_mul_f32_e32 v213, v49, v213                              // 000000016A90: 0BABAB31
	v_mul_f32_e32 v214, v49, v214                              // 000000016A94: 0BADAD31
	v_mul_f32_e32 v215, v49, v215                              // 000000016A98: 0BAFAF31
	s_waitcnt lgkmcnt(0)                                       // 000000016A9C: BF8CC07F
	s_barrier                                                  // 000000016AA0: BF8A0000
	ds_read_b32 v64, v7 offset:16896                           // 000000016AA4: D86C4200 40000007
	ds_read_b32 v65, v7 offset:16960                           // 000000016AAC: D86C4240 41000007
	ds_read_b32 v66, v7 offset:17024                           // 000000016AB4: D86C4280 42000007
	ds_read_b32 v67, v7 offset:17088                           // 000000016ABC: D86C42C0 43000007
	ds_read_b32 v68, v7 offset:17152                           // 000000016AC4: D86C4300 44000007
	ds_read_b32 v69, v7 offset:17216                           // 000000016ACC: D86C4340 45000007
	ds_read_b32 v70, v7 offset:17280                           // 000000016AD4: D86C4380 46000007
	ds_read_b32 v71, v7 offset:17344                           // 000000016ADC: D86C43C0 47000007
	ds_read_b32 v72, v7 offset:17408                           // 000000016AE4: D86C4400 48000007
	ds_read_b32 v73, v7 offset:17472                           // 000000016AEC: D86C4440 49000007
	ds_read_b32 v74, v7 offset:17536                           // 000000016AF4: D86C4480 4A000007
	ds_read_b32 v75, v7 offset:17600                           // 000000016AFC: D86C44C0 4B000007
	ds_read_b32 v76, v7 offset:17664                           // 000000016B04: D86C4500 4C000007
	ds_read_b32 v77, v7 offset:17728                           // 000000016B0C: D86C4540 4D000007
	ds_read_b32 v78, v7 offset:17792                           // 000000016B14: D86C4580 4E000007
	ds_read_b32 v79, v7 offset:17856                           // 000000016B1C: D86C45C0 4F000007
	buffer_load_dwordx4 a[28:31], v25, s[16:19], 0 offen offset:1024// 000000016B24: E05C1400 80841C19
	v_mul_f32_e32 v176, v44, v176                              // 000000016B2C: 0B61612C
	v_mul_f32_e32 v177, v44, v177                              // 000000016B30: 0B63632C
	v_mul_f32_e32 v178, v44, v178                              // 000000016B34: 0B65652C
	v_mul_f32_e32 v179, v44, v179                              // 000000016B38: 0B67672C
	v_mul_f32_e32 v180, v44, v180                              // 000000016B3C: 0B69692C
	v_mul_f32_e32 v181, v44, v181                              // 000000016B40: 0B6B6B2C
	v_mul_f32_e32 v182, v44, v182                              // 000000016B44: 0B6D6D2C
	v_mul_f32_e32 v183, v44, v183                              // 000000016B48: 0B6F6F2C
	s_waitcnt lgkmcnt(0)                                       // 000000016B4C: BF8CC07F
	v_max3_f32 v48, v64, v65, v48                              // 000000016B50: D1D30030 04C28340
	v_max3_f32 v48, v66, v67, v48                              // 000000016B58: D1D30030 04C28742
	v_max3_f32 v48, v68, v69, v48                              // 000000016B60: D1D30030 04C28B44
	v_max3_f32 v48, v70, v71, v48                              // 000000016B68: D1D30030 04C28F46
	v_max3_f32 v48, v72, v73, v48                              // 000000016B70: D1D30030 04C29348
	v_max3_f32 v48, v74, v75, v48                              // 000000016B78: D1D30030 04C2974A
	v_max3_f32 v48, v76, v77, v48                              // 000000016B80: D1D30030 04C29B4C
	v_max3_f32 v48, v78, v79, v48                              // 000000016B88: D1D30030 04C29F4E
	buffer_load_dwordx4 a[64:67], v30, s[20:23], 0 offen       // 000000016B90: E05C1000 8085401E
	v_mov_b32_e32 v64, 0xff800000                              // 000000016B98: 7E8002FF FF800000
	v_cmp_eq_u32_e64 s[40:41], v64, v11                        // 000000016BA0: D0CA0028 00021740
	s_nop 1                                                    // 000000016BA8: BF800001
	v_max_f32_e32 v15, v48, v11                                // 000000016BAC: 161E1730
	v_mul_f32_e32 v53, s64, v15                                // 000000016BB0: 0A6A1E40
	v_fma_f32 v112, v112, s64, -v53                            // 000000016BB4: D1CB0070 84D48170
	v_fma_f32 v113, v113, s64, -v53                            // 000000016BBC: D1CB0071 84D48171
	v_fma_f32 v114, v114, s64, -v53                            // 000000016BC4: D1CB0072 84D48172
	v_fma_f32 v115, v115, s64, -v53                            // 000000016BCC: D1CB0073 84D48173
	v_fma_f32 v116, v116, s64, -v53                            // 000000016BD4: D1CB0074 84D48174
	v_fma_f32 v117, v117, s64, -v53                            // 000000016BDC: D1CB0075 84D48175
	v_fma_f32 v118, v118, s64, -v53                            // 000000016BE4: D1CB0076 84D48176
	v_fma_f32 v119, v119, s64, -v53                            // 000000016BEC: D1CB0077 84D48177
	v_fma_f32 v120, v120, s64, -v53                            // 000000016BF4: D1CB0078 84D48178
	v_fma_f32 v121, v121, s64, -v53                            // 000000016BFC: D1CB0079 84D48179
	v_fma_f32 v122, v122, s64, -v53                            // 000000016C04: D1CB007A 84D4817A
	v_fma_f32 v123, v123, s64, -v53                            // 000000016C0C: D1CB007B 84D4817B
	v_fma_f32 v124, v124, s64, -v53                            // 000000016C14: D1CB007C 84D4817C
	v_fma_f32 v125, v125, s64, -v53                            // 000000016C1C: D1CB007D 84D4817D
	v_fma_f32 v126, v126, s64, -v53                            // 000000016C24: D1CB007E 84D4817E
	v_fma_f32 v127, v127, s64, -v53                            // 000000016C2C: D1CB007F 84D4817F
	buffer_load_dwordx4 a[68:71], v31, s[20:23], 0 offen       // 000000016C34: E05C1000 8085441F
	v_exp_f32_e32 v112, v112                                   // 000000016C3C: 7EE04170
	v_exp_f32_e32 v113, v113                                   // 000000016C40: 7EE24171
	v_exp_f32_e32 v114, v114                                   // 000000016C44: 7EE44172
	v_exp_f32_e32 v115, v115                                   // 000000016C48: 7EE64173
	v_exp_f32_e32 v116, v116                                   // 000000016C4C: 7EE84174
	v_exp_f32_e32 v117, v117                                   // 000000016C50: 7EEA4175
	v_exp_f32_e32 v118, v118                                   // 000000016C54: 7EEC4176
	v_exp_f32_e32 v119, v119                                   // 000000016C58: 7EEE4177
	v_exp_f32_e32 v120, v120                                   // 000000016C5C: 7EF04178
	v_exp_f32_e32 v121, v121                                   // 000000016C60: 7EF24179
	v_exp_f32_e32 v122, v122                                   // 000000016C64: 7EF4417A
	v_exp_f32_e32 v123, v123                                   // 000000016C68: 7EF6417B
	v_exp_f32_e32 v124, v124                                   // 000000016C6C: 7EF8417C
	v_exp_f32_e32 v125, v125                                   // 000000016C70: 7EFA417D
	v_exp_f32_e32 v126, v126                                   // 000000016C74: 7EFC417E
	v_exp_f32_e32 v127, v127                                   // 000000016C78: 7EFE417F
	buffer_load_dwordx4 a[72:75], v32, s[20:23], 0 offen       // 000000016C7C: E05C1000 80854820
	v_mul_f32_dpp v240, v252, v112 quad_perm:[0,0,0,0] row_mask:0xf bank_mask:0xf// 000000016C84: 0BE0E0FA FF0000FC
	v_mul_f32_dpp v241, v252, v113 quad_perm:[1,1,1,1] row_mask:0xf bank_mask:0xf// 000000016C8C: 0BE2E2FA FF0055FC
	v_mul_f32_dpp v242, v252, v114 quad_perm:[2,2,2,2] row_mask:0xf bank_mask:0xf// 000000016C94: 0BE4E4FA FF00AAFC
	v_mul_f32_dpp v243, v252, v115 quad_perm:[3,3,3,3] row_mask:0xf bank_mask:0xf// 000000016C9C: 0BE6E6FA FF00FFFC
	v_mul_f32_dpp v244, v253, v116 quad_perm:[0,0,0,0] row_mask:0xf bank_mask:0xf// 000000016CA4: 0BE8E8FA FF0000FD
	v_mul_f32_dpp v245, v253, v117 quad_perm:[1,1,1,1] row_mask:0xf bank_mask:0xf// 000000016CAC: 0BEAEAFA FF0055FD
	v_mul_f32_dpp v246, v253, v118 quad_perm:[2,2,2,2] row_mask:0xf bank_mask:0xf// 000000016CB4: 0BECECFA FF00AAFD
	v_mul_f32_dpp v247, v253, v119 quad_perm:[3,3,3,3] row_mask:0xf bank_mask:0xf// 000000016CBC: 0BEEEEFA FF00FFFD
	v_mul_f32_dpp v248, v254, v120 quad_perm:[0,0,0,0] row_mask:0xf bank_mask:0xf// 000000016CC4: 0BF0F0FA FF0000FE
	v_mul_f32_dpp v249, v254, v121 quad_perm:[1,1,1,1] row_mask:0xf bank_mask:0xf// 000000016CCC: 0BF2F2FA FF0055FE
	v_mul_f32_dpp v250, v254, v122 quad_perm:[2,2,2,2] row_mask:0xf bank_mask:0xf// 000000016CD4: 0BF4F4FA FF00AAFE
	v_mul_f32_dpp v251, v254, v123 quad_perm:[3,3,3,3] row_mask:0xf bank_mask:0xf// 000000016CDC: 0BF6F6FA FF00FFFE
	v_mul_f32_dpp v252, v255, v124 quad_perm:[0,0,0,0] row_mask:0xf bank_mask:0xf// 000000016CE4: 0BF8F8FA FF0000FF
	v_mul_f32_dpp v253, v255, v125 quad_perm:[1,1,1,1] row_mask:0xf bank_mask:0xf// 000000016CEC: 0BFAFAFA FF0055FF
	v_mul_f32_dpp v254, v255, v126 quad_perm:[2,2,2,2] row_mask:0xf bank_mask:0xf// 000000016CF4: 0BFCFCFA FF00AAFF
	v_mul_f32_dpp v255, v255, v127 quad_perm:[3,3,3,3] row_mask:0xf bank_mask:0xf// 000000016CFC: 0BFEFEFA FF00FFFF
	v_mov_b32_e32 v48, 0x358637bd                              // 000000016D04: 7E6002FF 358637BD
	v_max3_f32 v48, |v240|, |v241|, v48                        // 000000016D0C: D1D30330 04C3E3F0
	v_max3_f32 v48, |v242|, |v243|, v48                        // 000000016D14: D1D30330 04C3E7F2
	v_max3_f32 v48, |v244|, |v245|, v48                        // 000000016D1C: D1D30330 04C3EBF4
	v_max3_f32 v48, |v246|, |v247|, v48                        // 000000016D24: D1D30330 04C3EFF6
	v_max3_f32 v48, |v248|, |v249|, v48                        // 000000016D2C: D1D30330 04C3F3F8
	v_max3_f32 v48, |v250|, |v251|, v48                        // 000000016D34: D1D30330 04C3F7FA
	v_max3_f32 v48, |v252|, |v253|, v48                        // 000000016D3C: D1D30330 04C3FBFC
	v_max3_f32 v48, |v254|, |v255|, v48                        // 000000016D44: D1D30330 04C3FFFE
	buffer_load_dwordx4 a[76:79], v33, s[20:23], 0 offen       // 000000016D4C: E05C1000 80854C21
	ds_write_b32 v8, v48 offset:20992                          // 000000016D54: D81A5200 00003008
	v_sub_f32_e32 v49, v11, v15                                // 000000016D5C: 04621F0B
	v_cndmask_b32_e64 v49, v49, 0, s[40:41]                    // 000000016D60: D1000031 00A10131
	v_mov_b32_e32 v11, v15                                     // 000000016D68: 7E16030F
	v_mul_f32_e32 v49, s64, v49                                // 000000016D6C: 0A626240
	v_exp_f32_e32 v49, v49                                     // 000000016D70: 7E624131
	s_waitcnt lgkmcnt(0)                                       // 000000016D74: BF8CC07F
	s_barrier                                                  // 000000016D78: BF8A0000
	ds_read_b32 v64, v7 offset:20992                           // 000000016D7C: D86C5200 40000007
	ds_read_b32 v65, v7 offset:21056                           // 000000016D84: D86C5240 41000007
	ds_read_b32 v66, v7 offset:21120                           // 000000016D8C: D86C5280 42000007
	ds_read_b32 v67, v7 offset:21184                           // 000000016D94: D86C52C0 43000007
	ds_read_b32 v68, v7 offset:21248                           // 000000016D9C: D86C5300 44000007
	ds_read_b32 v69, v7 offset:21312                           // 000000016DA4: D86C5340 45000007
	ds_read_b32 v70, v7 offset:21376                           // 000000016DAC: D86C5380 46000007
	ds_read_b32 v71, v7 offset:21440                           // 000000016DB4: D86C53C0 47000007
	ds_read_b32 v72, v7 offset:21504                           // 000000016DBC: D86C5400 48000007
	ds_read_b32 v73, v7 offset:21568                           // 000000016DC4: D86C5440 49000007
	ds_read_b32 v74, v7 offset:21632                           // 000000016DCC: D86C5480 4A000007
	ds_read_b32 v75, v7 offset:21696                           // 000000016DD4: D86C54C0 4B000007
	ds_read_b32 v76, v7 offset:21760                           // 000000016DDC: D86C5500 4C000007
	ds_read_b32 v77, v7 offset:21824                           // 000000016DE4: D86C5540 4D000007
	ds_read_b32 v78, v7 offset:21888                           // 000000016DEC: D86C5580 4E000007
	ds_read_b32 v79, v7 offset:21952                           // 000000016DF4: D86C55C0 4F000007
	v_mul_f32_e32 v38, v49, v38                                // 000000016DFC: 0A4C4D31
	v_mov_b32_e32 v15, v112                                    // 000000016E00: 7E1E0370
	v_add_f32_e32 v15, v113, v15                               // 000000016E04: 021E1F71
	v_add_f32_e32 v15, v114, v15                               // 000000016E08: 021E1F72
	v_add_f32_e32 v15, v115, v15                               // 000000016E0C: 021E1F73
	v_add_f32_e32 v15, v116, v15                               // 000000016E10: 021E1F74
	v_add_f32_e32 v15, v117, v15                               // 000000016E14: 021E1F75
	v_add_f32_e32 v15, v118, v15                               // 000000016E18: 021E1F76
	v_add_f32_e32 v15, v119, v15                               // 000000016E1C: 021E1F77
	v_add_f32_e32 v15, v120, v15                               // 000000016E20: 021E1F78
	v_add_f32_e32 v15, v121, v15                               // 000000016E24: 021E1F79
	v_add_f32_e32 v15, v122, v15                               // 000000016E28: 021E1F7A
	v_add_f32_e32 v15, v123, v15                               // 000000016E2C: 021E1F7B
	v_add_f32_e32 v15, v124, v15                               // 000000016E30: 021E1F7C
	v_add_f32_e32 v15, v125, v15                               // 000000016E34: 021E1F7D
	v_add_f32_e32 v15, v126, v15                               // 000000016E38: 021E1F7E
	v_add_f32_e32 v15, v127, v15                               // 000000016E3C: 021E1F7F
	v_add_f32_e32 v38, v15, v38                                // 000000016E40: 024C4D0F
	s_waitcnt lgkmcnt(0)                                       // 000000016E44: BF8CC07F
	v_max3_f32 v48, |v64|, |v65|, v48                          // 000000016E48: D1D30330 04C28340
	v_max3_f32 v48, |v66|, |v67|, v48                          // 000000016E50: D1D30330 04C28742
	v_max3_f32 v48, |v68|, |v69|, v48                          // 000000016E58: D1D30330 04C28B44
	v_max3_f32 v48, |v70|, |v71|, v48                          // 000000016E60: D1D30330 04C28F46
	v_max3_f32 v48, |v72|, |v73|, v48                          // 000000016E68: D1D30330 04C29348
	v_max3_f32 v48, |v74|, |v75|, v48                          // 000000016E70: D1D30330 04C2974A
	v_max3_f32 v48, |v76|, |v77|, v48                          // 000000016E78: D1D30330 04C29B4C
	v_max3_f32 v48, |v78|, |v79|, v48                          // 000000016E80: D1D30330 04C29F4E
	s_nop 2                                                    // 000000016E88: BF800002
	v_rcp_f32_e32 v48, v48                                     // 000000016E8C: 7E604530
	s_nop 1                                                    // 000000016E90: BF800001
	v_mul_f32_e32 v48, 0x43700000, v48                         // 000000016E94: 0A6060FF 43700000
	v_mul_f32_e32 v112, v48, v240                              // 000000016E9C: 0AE1E130
	v_mul_f32_e32 v113, v48, v241                              // 000000016EA0: 0AE3E330
	v_mul_f32_e32 v114, v48, v242                              // 000000016EA4: 0AE5E530
	v_mul_f32_e32 v115, v48, v243                              // 000000016EA8: 0AE7E730
	v_mul_f32_e32 v116, v48, v244                              // 000000016EAC: 0AE9E930
	v_mul_f32_e32 v117, v48, v245                              // 000000016EB0: 0AEBEB30
	v_mul_f32_e32 v118, v48, v246                              // 000000016EB4: 0AEDED30
	v_mul_f32_e32 v119, v48, v247                              // 000000016EB8: 0AEFEF30
	v_mul_f32_e32 v120, v48, v248                              // 000000016EBC: 0AF1F130
	v_mul_f32_e32 v121, v48, v249                              // 000000016EC0: 0AF3F330
	v_mul_f32_e32 v122, v48, v250                              // 000000016EC4: 0AF5F530
	v_mul_f32_e32 v123, v48, v251                              // 000000016EC8: 0AF7F730
	v_mul_f32_e32 v124, v48, v252                              // 000000016ECC: 0AF9F930
	v_mul_f32_e32 v125, v48, v253                              // 000000016ED0: 0AFBFB30
	v_mul_f32_e32 v126, v48, v254                              // 000000016ED4: 0AFDFD30
	v_mul_f32_e32 v127, v48, v255                              // 000000016ED8: 0AFFFF30
	v_cvt_pk_fp8_f32 v112, v112, v113                          // 000000016EDC: D2A20070 0002E370
	v_cvt_pk_fp8_f32 v112, v114, v115 op_sel:[0,0,1]           // 000000016EE4: D2A24070 0002E772
	v_cvt_pk_fp8_f32 v113, v116, v117                          // 000000016EEC: D2A20071 0002EB74
	v_cvt_pk_fp8_f32 v113, v118, v119 op_sel:[0,0,1]           // 000000016EF4: D2A24071 0002EF76
	v_cvt_pk_fp8_f32 v114, v120, v121                          // 000000016EFC: D2A20072 0002F378
	v_cvt_pk_fp8_f32 v114, v122, v123 op_sel:[0,0,1]           // 000000016F04: D2A24072 0002F77A
	v_cvt_pk_fp8_f32 v115, v124, v125                          // 000000016F0C: D2A20073 0002FB7C
	v_cvt_pk_fp8_f32 v115, v126, v127 op_sel:[0,0,1]           // 000000016F14: D2A24073 0002FF7E
	ds_write_b32 v10, v112 offset:25088                        // 000000016F1C: D81A6200 0000700A
	ds_write_b32 v10, v113 offset:26112                        // 000000016F24: D81A6600 0000710A
	ds_write_b32 v10, v114 offset:27136                        // 000000016F2C: D81A6A00 0000720A
	ds_write_b32 v10, v115 offset:28160                        // 000000016F34: D81A6E00 0000730A
	v_add_f32_e32 v208, v208, v176                             // 000000016F3C: 03A161D0
	v_add_f32_e32 v209, v209, v177                             // 000000016F40: 03A363D1
	v_add_f32_e32 v210, v210, v178                             // 000000016F44: 03A565D2
	v_add_f32_e32 v211, v211, v179                             // 000000016F48: 03A767D3
	v_add_f32_e32 v212, v212, v180                             // 000000016F4C: 03A969D4
	v_add_f32_e32 v213, v213, v181                             // 000000016F50: 03AB6BD5
	v_add_f32_e32 v214, v214, v182                             // 000000016F54: 03AD6DD6
	v_add_f32_e32 v215, v215, v183                             // 000000016F58: 03AF6FD7
	v_rcp_f32_e32 v44, v48                                     // 000000016F5C: 7E584530
	s_waitcnt lgkmcnt(0)                                       // 000000016F60: BF8CC07F
	s_barrier                                                  // 000000016F64: BF8A0000
	ds_read_b64 v[112:113], v9 offset:25088                    // 000000016F68: D8EC6200 70000009
	ds_read_b64 v[114:115], v9 offset:25216                    // 000000016F70: D8EC6280 72000009
	ds_read_b64 v[116:117], v9 offset:26112                    // 000000016F78: D8EC6600 74000009
	ds_read_b64 v[118:119], v9 offset:26240                    // 000000016F80: D8EC6680 76000009
	ds_read_b64 v[120:121], v9 offset:27136                    // 000000016F88: D8EC6A00 78000009
	ds_read_b64 v[122:123], v9 offset:27264                    // 000000016F90: D8EC6A80 7A000009
	ds_read_b64 v[124:125], v9 offset:28160                    // 000000016F98: D8EC6E00 7C000009
	ds_read_b64 v[126:127], v9 offset:28288                    // 000000016FA0: D8EC6E80 7E000009
	v_mov_b32_dpp v64, v43 row_shr:4 row_mask:0xf bank_mask:0xf// 000000016FA8: 7E8002FA FF01142B
	v_mov_b32_dpp v65, v43 row_shl:4 row_mask:0xf bank_mask:0xf// 000000016FB0: 7E8202FA FF01042B
	v_cndmask_b32_e64 v248, v43, v64, s[44:45]                 // 000000016FB8: D10000F8 00B2812B
	v_cndmask_b32_e64 v249, v65, v43, s[44:45]                 // 000000016FC0: D10000F9 00B25741
	v_mov_b32_dpp v64, v248 row_shr:8 row_mask:0xf bank_mask:0xf// 000000016FC8: 7E8002FA FF0118F8
	v_mov_b32_dpp v65, v248 row_shl:8 row_mask:0xf bank_mask:0xf// 000000016FD0: 7E8202FA FF0108F8
	v_mov_b32_dpp v66, v249 row_shr:8 row_mask:0xf bank_mask:0xf// 000000016FD8: 7E8402FA FF0118F9
	v_mov_b32_dpp v67, v249 row_shl:8 row_mask:0xf bank_mask:0xf// 000000016FE0: 7E8602FA FF0108F9
	v_mov_b32_e32 v68, v248                                    // 000000016FE8: 7E8803F8
	v_mov_b32_e32 v69, v249                                    // 000000016FEC: 7E8A03F9
	v_cndmask_b32_e64 v248, v68, v64, s[42:43]                 // 000000016FF0: D10000F8 00AA8144
	v_cndmask_b32_e64 v250, v68, v65, s[78:79]                 // 000000016FF8: D10000FA 013A8344
	v_cndmask_b32_e64 v249, v69, v66, s[42:43]                 // 000000017000: D10000F9 00AA8545
	v_cndmask_b32_e64 v251, v69, v67, s[78:79]                 // 000000017008: D10000FB 013A8745
	v_mov_b32_dpp v64, v58 row_shr:4 row_mask:0xf bank_mask:0xf// 000000017010: 7E8002FA FF01143A
	v_mov_b32_dpp v65, v58 row_shl:4 row_mask:0xf bank_mask:0xf// 000000017018: 7E8202FA FF01043A
	v_cndmask_b32_e64 v252, v58, v64, s[44:45]                 // 000000017020: D10000FC 00B2813A
	v_cndmask_b32_e64 v253, v65, v58, s[44:45]                 // 000000017028: D10000FD 00B27541
	v_mov_b32_dpp v64, v252 row_shr:8 row_mask:0xf bank_mask:0xf// 000000017030: 7E8002FA FF0118FC
	v_mov_b32_dpp v65, v252 row_shl:8 row_mask:0xf bank_mask:0xf// 000000017038: 7E8202FA FF0108FC
	v_mov_b32_dpp v66, v253 row_shr:8 row_mask:0xf bank_mask:0xf// 000000017040: 7E8402FA FF0118FD
	v_mov_b32_dpp v67, v253 row_shl:8 row_mask:0xf bank_mask:0xf// 000000017048: 7E8602FA FF0108FD
	v_mov_b32_e32 v68, v252                                    // 000000017050: 7E8803FC
	v_mov_b32_e32 v69, v253                                    // 000000017054: 7E8A03FD
	v_cndmask_b32_e64 v252, v68, v64, s[42:43]                 // 000000017058: D10000FC 00AA8144
	v_cndmask_b32_e64 v254, v68, v65, s[78:79]                 // 000000017060: D10000FE 013A8344
	v_cndmask_b32_e64 v253, v69, v66, s[42:43]                 // 000000017068: D10000FD 00AA8545
	v_cndmask_b32_e64 v255, v69, v67, s[78:79]                 // 000000017070: D10000FF 013A8745
	v_mul_f32_e32 v128, v19, v128                              // 000000017078: 0B010113
	v_mul_f32_e32 v129, v19, v129                              // 00000001707C: 0B030313
	v_mul_f32_e32 v130, v19, v130                              // 000000017080: 0B050513
	v_mul_f32_e32 v131, v19, v131                              // 000000017084: 0B070713
	v_mul_f32_e32 v132, v19, v132                              // 000000017088: 0B090913
	v_mul_f32_e32 v133, v19, v133                              // 00000001708C: 0B0B0B13
	v_mul_f32_e32 v134, v19, v134                              // 000000017090: 0B0D0D13
	v_mul_f32_e32 v135, v19, v135                              // 000000017094: 0B0F0F13
	v_mul_f32_e32 v136, v19, v136                              // 000000017098: 0B111113
	v_mul_f32_e32 v137, v19, v137                              // 00000001709C: 0B131313
	v_mul_f32_e32 v138, v19, v138                              // 0000000170A0: 0B151513
	v_mul_f32_e32 v139, v19, v139                              // 0000000170A4: 0B171713
	v_mul_f32_e32 v140, v19, v140                              // 0000000170A8: 0B191913
	v_mul_f32_e32 v141, v19, v141                              // 0000000170AC: 0B1B1B13
	v_mul_f32_e32 v142, v19, v142                              // 0000000170B0: 0B1D1D13
	v_mul_f32_e32 v143, v19, v143                              // 0000000170B4: 0B1F1F13
	v_mul_f32_dpp v128, v248, v128 quad_perm:[0,0,0,0] row_mask:0xf bank_mask:0xf// 0000000170B8: 0B0100FA FF0000F8
	v_mul_f32_dpp v129, v248, v129 quad_perm:[1,1,1,1] row_mask:0xf bank_mask:0xf// 0000000170C0: 0B0302FA FF0055F8
	v_mul_f32_dpp v130, v248, v130 quad_perm:[2,2,2,2] row_mask:0xf bank_mask:0xf// 0000000170C8: 0B0504FA FF00AAF8
	v_mul_f32_dpp v131, v248, v131 quad_perm:[3,3,3,3] row_mask:0xf bank_mask:0xf// 0000000170D0: 0B0706FA FF00FFF8
	v_mul_f32_dpp v132, v249, v132 quad_perm:[0,0,0,0] row_mask:0xf bank_mask:0xf// 0000000170D8: 0B0908FA FF0000F9
	v_mul_f32_dpp v133, v249, v133 quad_perm:[1,1,1,1] row_mask:0xf bank_mask:0xf// 0000000170E0: 0B0B0AFA FF0055F9
	v_mul_f32_dpp v134, v249, v134 quad_perm:[2,2,2,2] row_mask:0xf bank_mask:0xf// 0000000170E8: 0B0D0CFA FF00AAF9
	v_mul_f32_dpp v135, v249, v135 quad_perm:[3,3,3,3] row_mask:0xf bank_mask:0xf// 0000000170F0: 0B0F0EFA FF00FFF9
	v_mul_f32_dpp v136, v250, v136 quad_perm:[0,0,0,0] row_mask:0xf bank_mask:0xf// 0000000170F8: 0B1110FA FF0000FA
	v_mul_f32_dpp v137, v250, v137 quad_perm:[1,1,1,1] row_mask:0xf bank_mask:0xf// 000000017100: 0B1312FA FF0055FA
	v_mul_f32_dpp v138, v250, v138 quad_perm:[2,2,2,2] row_mask:0xf bank_mask:0xf// 000000017108: 0B1514FA FF00AAFA
	v_mul_f32_dpp v139, v250, v139 quad_perm:[3,3,3,3] row_mask:0xf bank_mask:0xf// 000000017110: 0B1716FA FF00FFFA
	v_mul_f32_dpp v140, v251, v140 quad_perm:[0,0,0,0] row_mask:0xf bank_mask:0xf// 000000017118: 0B1918FA FF0000FB
	v_mul_f32_dpp v141, v251, v141 quad_perm:[1,1,1,1] row_mask:0xf bank_mask:0xf// 000000017120: 0B1B1AFA FF0055FB
	v_mul_f32_dpp v142, v251, v142 quad_perm:[2,2,2,2] row_mask:0xf bank_mask:0xf// 000000017128: 0B1D1CFA FF00AAFB
	v_mul_f32_dpp v143, v251, v143 quad_perm:[3,3,3,3] row_mask:0xf bank_mask:0xf// 000000017130: 0B1F1EFA FF00FFFB
	s_cmp_le_i32 s90, s89                                      // 000000017138: BF05595A
	s_cbranch_scc1 label_5441                                  // 00000001713C: BF850071
	v_mov_b32_e32 v66, 0xff800000                              // 000000017140: 7E8402FF FF800000
	s_mov_b32 s60, s90                                         // 000000017148: BEBC005A
	s_add_u32 s61, s89, 0xff                                   // 00000001714C: 803DFF59 000000FF
	v_mov_b32_e32 v64, s61                                     // 000000017154: 7E80023D
	v_lshrrev_b32_e32 v240, 4, v0                              // 000000017158: 21E00084
	v_mul_i32_i24_e32 v240, 4, v240                            // 00000001715C: 0DE1E084
	v_add_u32_e32 v240, s60, v240                              // 000000017160: 69E1E03C
	s_mov_b32 s61, 1                                           // 000000017164: BEBD0081
	s_mul_i32 s60, 16, s7                                      // 000000017168: 923C0790
	v_sub_u32_e64 v240, v240, s61                              // 00000001716C: D13500F0 00007BF0
	v_add_u32_e32 v240, s60, v240                              // 000000017174: 69E1E03C
	v_add_u32_e32 v241, 1, v240                                // 000000017178: 69E3E081
	v_add_u32_e32 v242, 2, v240                                // 00000001717C: 69E5E082
	v_add_u32_e32 v243, 3, v240                                // 000000017180: 69E7E083
	v_cmp_le_u32_e64 s[40:41], v240, v64                       // 000000017184: D0CB0028 000281F0
	v_add_u32_e32 v240, 64, v240                               // 00000001718C: 69E1E0C0
	s_nop 0                                                    // 000000017190: BF800000
	v_cndmask_b32_e64 v128, v66, v128, s[40:41]                // 000000017194: D1000080 00A30142
	v_cmp_le_u32_e64 s[40:41], v241, v64                       // 00000001719C: D0CB0028 000281F1
	v_add_u32_e32 v241, 64, v241                               // 0000000171A4: 69E3E2C0
	s_nop 0                                                    // 0000000171A8: BF800000
	v_cndmask_b32_e64 v129, v66, v129, s[40:41]                // 0000000171AC: D1000081 00A30342
	v_cmp_le_u32_e64 s[40:41], v242, v64                       // 0000000171B4: D0CB0028 000281F2
	v_add_u32_e32 v242, 64, v242                               // 0000000171BC: 69E5E4C0
	s_nop 0                                                    // 0000000171C0: BF800000
	v_cndmask_b32_e64 v130, v66, v130, s[40:41]                // 0000000171C4: D1000082 00A30542
	v_cmp_le_u32_e64 s[40:41], v243, v64                       // 0000000171CC: D0CB0028 000281F3
	v_add_u32_e32 v243, 64, v243                               // 0000000171D4: 69E7E6C0
	s_nop 0                                                    // 0000000171D8: BF800000
	v_cndmask_b32_e64 v131, v66, v131, s[40:41]                // 0000000171DC: D1000083 00A30742
	v_cmp_le_u32_e64 s[40:41], v240, v64                       // 0000000171E4: D0CB0028 000281F0
	v_add_u32_e32 v240, 64, v240                               // 0000000171EC: 69E1E0C0
	s_nop 0                                                    // 0000000171F0: BF800000
	v_cndmask_b32_e64 v132, v66, v132, s[40:41]                // 0000000171F4: D1000084 00A30942
	v_cmp_le_u32_e64 s[40:41], v241, v64                       // 0000000171FC: D0CB0028 000281F1
	v_add_u32_e32 v241, 64, v241                               // 000000017204: 69E3E2C0
	s_nop 0                                                    // 000000017208: BF800000
	v_cndmask_b32_e64 v133, v66, v133, s[40:41]                // 00000001720C: D1000085 00A30B42
	v_cmp_le_u32_e64 s[40:41], v242, v64                       // 000000017214: D0CB0028 000281F2
	v_add_u32_e32 v242, 64, v242                               // 00000001721C: 69E5E4C0
	s_nop 0                                                    // 000000017220: BF800000
	v_cndmask_b32_e64 v134, v66, v134, s[40:41]                // 000000017224: D1000086 00A30D42
	v_cmp_le_u32_e64 s[40:41], v243, v64                       // 00000001722C: D0CB0028 000281F3
	v_add_u32_e32 v243, 64, v243                               // 000000017234: 69E7E6C0
	s_nop 0                                                    // 000000017238: BF800000
	v_cndmask_b32_e64 v135, v66, v135, s[40:41]                // 00000001723C: D1000087 00A30F42
	v_cmp_le_u32_e64 s[40:41], v240, v64                       // 000000017244: D0CB0028 000281F0
	v_add_u32_e32 v240, 64, v240                               // 00000001724C: 69E1E0C0
	s_nop 0                                                    // 000000017250: BF800000
	v_cndmask_b32_e64 v136, v66, v136, s[40:41]                // 000000017254: D1000088 00A31142
	v_cmp_le_u32_e64 s[40:41], v241, v64                       // 00000001725C: D0CB0028 000281F1
	v_add_u32_e32 v241, 64, v241                               // 000000017264: 69E3E2C0
	s_nop 0                                                    // 000000017268: BF800000
	v_cndmask_b32_e64 v137, v66, v137, s[40:41]                // 00000001726C: D1000089 00A31342
	v_cmp_le_u32_e64 s[40:41], v242, v64                       // 000000017274: D0CB0028 000281F2
	v_add_u32_e32 v242, 64, v242                               // 00000001727C: 69E5E4C0
	s_nop 0                                                    // 000000017280: BF800000
	v_cndmask_b32_e64 v138, v66, v138, s[40:41]                // 000000017284: D100008A 00A31542
	v_cmp_le_u32_e64 s[40:41], v243, v64                       // 00000001728C: D0CB0028 000281F3
	v_add_u32_e32 v243, 64, v243                               // 000000017294: 69E7E6C0
	s_nop 0                                                    // 000000017298: BF800000
	v_cndmask_b32_e64 v139, v66, v139, s[40:41]                // 00000001729C: D100008B 00A31742
	v_cmp_le_u32_e64 s[40:41], v240, v64                       // 0000000172A4: D0CB0028 000281F0
	v_add_u32_e32 v240, 64, v240                               // 0000000172AC: 69E1E0C0
	s_nop 0                                                    // 0000000172B0: BF800000
	v_cndmask_b32_e64 v140, v66, v140, s[40:41]                // 0000000172B4: D100008C 00A31942
	v_cmp_le_u32_e64 s[40:41], v241, v64                       // 0000000172BC: D0CB0028 000281F1
	v_add_u32_e32 v241, 64, v241                               // 0000000172C4: 69E3E2C0
	s_nop 0                                                    // 0000000172C8: BF800000
	v_cndmask_b32_e64 v141, v66, v141, s[40:41]                // 0000000172CC: D100008D 00A31B42
	v_cmp_le_u32_e64 s[40:41], v242, v64                       // 0000000172D4: D0CB0028 000281F2
	v_add_u32_e32 v242, 64, v242                               // 0000000172DC: 69E5E4C0
	s_nop 0                                                    // 0000000172E0: BF800000
	v_cndmask_b32_e64 v142, v66, v142, s[40:41]                // 0000000172E4: D100008E 00A31D42
	v_cmp_le_u32_e64 s[40:41], v243, v64                       // 0000000172EC: D0CB0028 000281F3
	v_add_u32_e32 v243, 64, v243                               // 0000000172F4: 69E7E6C0
	s_nop 0                                                    // 0000000172F8: BF800000
	v_cndmask_b32_e64 v143, v66, v143, s[40:41]                // 0000000172FC: D100008F 00A31F42

0000000000017304 <label_5441>:
	v_mov_b32_e32 v48, v128                                    // 000000017304: 7E600380
	v_max3_f32 v48, v128, v129, v48                            // 000000017308: D1D30030 04C30380
	v_max3_f32 v48, v130, v131, v48                            // 000000017310: D1D30030 04C30782
	v_max3_f32 v48, v132, v133, v48                            // 000000017318: D1D30030 04C30B84
	v_max3_f32 v48, v134, v135, v48                            // 000000017320: D1D30030 04C30F86
	v_max3_f32 v48, v136, v137, v48                            // 000000017328: D1D30030 04C31388
	v_max3_f32 v48, v138, v139, v48                            // 000000017330: D1D30030 04C3178A
	v_max3_f32 v48, v140, v141, v48                            // 000000017338: D1D30030 04C31B8C
	v_max3_f32 v48, v142, v143, v48                            // 000000017340: D1D30030 04C31F8E
	ds_write_b32 v8, v48 offset:16896                          // 000000017348: D81A4200 00003008
	v_mul_f32_e32 v216, v50, v216                              // 000000017350: 0BB1B132
	v_mul_f32_e32 v217, v50, v217                              // 000000017354: 0BB3B332
	v_mul_f32_e32 v218, v50, v218                              // 000000017358: 0BB5B532
	v_mul_f32_e32 v219, v50, v219                              // 00000001735C: 0BB7B732
	v_mul_f32_e32 v220, v50, v220                              // 000000017360: 0BB9B932
	v_mul_f32_e32 v221, v50, v221                              // 000000017364: 0BBBBB32
	v_mul_f32_e32 v222, v50, v222                              // 000000017368: 0BBDBD32
	v_mul_f32_e32 v223, v50, v223                              // 00000001736C: 0BBFBF32
	s_waitcnt lgkmcnt(0)                                       // 000000017370: BF8CC07F
	s_barrier                                                  // 000000017374: BF8A0000
	ds_read_b32 v64, v7 offset:16896                           // 000000017378: D86C4200 40000007
	ds_read_b32 v65, v7 offset:16960                           // 000000017380: D86C4240 41000007
	ds_read_b32 v66, v7 offset:17024                           // 000000017388: D86C4280 42000007
	ds_read_b32 v67, v7 offset:17088                           // 000000017390: D86C42C0 43000007
	ds_read_b32 v68, v7 offset:17152                           // 000000017398: D86C4300 44000007
	ds_read_b32 v69, v7 offset:17216                           // 0000000173A0: D86C4340 45000007
	ds_read_b32 v70, v7 offset:17280                           // 0000000173A8: D86C4380 46000007
	ds_read_b32 v71, v7 offset:17344                           // 0000000173B0: D86C43C0 47000007
	ds_read_b32 v72, v7 offset:17408                           // 0000000173B8: D86C4400 48000007
	ds_read_b32 v73, v7 offset:17472                           // 0000000173C0: D86C4440 49000007
	ds_read_b32 v74, v7 offset:17536                           // 0000000173C8: D86C4480 4A000007
	ds_read_b32 v75, v7 offset:17600                           // 0000000173D0: D86C44C0 4B000007
	ds_read_b32 v76, v7 offset:17664                           // 0000000173D8: D86C4500 4C000007
	ds_read_b32 v77, v7 offset:17728                           // 0000000173E0: D86C4540 4D000007
	ds_read_b32 v78, v7 offset:17792                           // 0000000173E8: D86C4580 4E000007
	ds_read_b32 v79, v7 offset:17856                           // 0000000173F0: D86C45C0 4F000007
	v_mul_f32_e32 v184, v45, v184                              // 0000000173F8: 0B71712D
	v_mul_f32_e32 v185, v45, v185                              // 0000000173FC: 0B73732D
	v_mul_f32_e32 v186, v45, v186                              // 000000017400: 0B75752D
	v_mul_f32_e32 v187, v45, v187                              // 000000017404: 0B77772D
	v_mul_f32_e32 v188, v45, v188                              // 000000017408: 0B79792D
	v_mul_f32_e32 v189, v45, v189                              // 00000001740C: 0B7B7B2D
	v_mul_f32_e32 v190, v45, v190                              // 000000017410: 0B7D7D2D
	v_mul_f32_e32 v191, v45, v191                              // 000000017414: 0B7F7F2D
	s_waitcnt lgkmcnt(0)                                       // 000000017418: BF8CC07F
	v_max3_f32 v48, v64, v65, v48                              // 00000001741C: D1D30030 04C28340
	v_max3_f32 v48, v66, v67, v48                              // 000000017424: D1D30030 04C28742
	v_max3_f32 v48, v68, v69, v48                              // 00000001742C: D1D30030 04C28B44
	v_max3_f32 v48, v70, v71, v48                              // 000000017434: D1D30030 04C28F46
	v_max3_f32 v48, v72, v73, v48                              // 00000001743C: D1D30030 04C29348
	v_max3_f32 v48, v74, v75, v48                              // 000000017444: D1D30030 04C2974A
	v_max3_f32 v48, v76, v77, v48                              // 00000001744C: D1D30030 04C29B4C
	v_max3_f32 v48, v78, v79, v48                              // 000000017454: D1D30030 04C29F4E
	v_mov_b32_e32 v64, 0xff800000                              // 00000001745C: 7E8002FF FF800000
	v_cmp_eq_u32_e64 s[40:41], v64, v12                        // 000000017464: D0CA0028 00021940
	s_nop 1                                                    // 00000001746C: BF800001
	v_max_f32_e32 v15, v48, v12                                // 000000017470: 161E1930
	v_mul_f32_e32 v53, s64, v15                                // 000000017474: 0A6A1E40
	v_fma_f32 v128, v128, s64, -v53                            // 000000017478: D1CB0080 84D48180
	v_fma_f32 v129, v129, s64, -v53                            // 000000017480: D1CB0081 84D48181
	v_fma_f32 v130, v130, s64, -v53                            // 000000017488: D1CB0082 84D48182
	v_fma_f32 v131, v131, s64, -v53                            // 000000017490: D1CB0083 84D48183
	v_fma_f32 v132, v132, s64, -v53                            // 000000017498: D1CB0084 84D48184
	v_fma_f32 v133, v133, s64, -v53                            // 0000000174A0: D1CB0085 84D48185
	v_fma_f32 v134, v134, s64, -v53                            // 0000000174A8: D1CB0086 84D48186
	v_fma_f32 v135, v135, s64, -v53                            // 0000000174B0: D1CB0087 84D48187
	v_fma_f32 v136, v136, s64, -v53                            // 0000000174B8: D1CB0088 84D48188
	v_fma_f32 v137, v137, s64, -v53                            // 0000000174C0: D1CB0089 84D48189
	v_fma_f32 v138, v138, s64, -v53                            // 0000000174C8: D1CB008A 84D4818A
	v_fma_f32 v139, v139, s64, -v53                            // 0000000174D0: D1CB008B 84D4818B
	v_fma_f32 v140, v140, s64, -v53                            // 0000000174D8: D1CB008C 84D4818C
	v_fma_f32 v141, v141, s64, -v53                            // 0000000174E0: D1CB008D 84D4818D
	v_fma_f32 v142, v142, s64, -v53                            // 0000000174E8: D1CB008E 84D4818E
	v_fma_f32 v143, v143, s64, -v53                            // 0000000174F0: D1CB008F 84D4818F
	v_exp_f32_e32 v128, v128                                   // 0000000174F8: 7F004180
	v_exp_f32_e32 v129, v129                                   // 0000000174FC: 7F024181
	v_exp_f32_e32 v130, v130                                   // 000000017500: 7F044182
	v_exp_f32_e32 v131, v131                                   // 000000017504: 7F064183
	v_exp_f32_e32 v132, v132                                   // 000000017508: 7F084184
	v_exp_f32_e32 v133, v133                                   // 00000001750C: 7F0A4185
	v_exp_f32_e32 v134, v134                                   // 000000017510: 7F0C4186
	v_exp_f32_e32 v135, v135                                   // 000000017514: 7F0E4187
	v_exp_f32_e32 v136, v136                                   // 000000017518: 7F104188
	v_exp_f32_e32 v137, v137                                   // 00000001751C: 7F124189
	v_exp_f32_e32 v138, v138                                   // 000000017520: 7F14418A
	v_exp_f32_e32 v139, v139                                   // 000000017524: 7F16418B
	v_exp_f32_e32 v140, v140                                   // 000000017528: 7F18418C
	v_exp_f32_e32 v141, v141                                   // 00000001752C: 7F1A418D
	v_exp_f32_e32 v142, v142                                   // 000000017530: 7F1C418E
	v_exp_f32_e32 v143, v143                                   // 000000017534: 7F1E418F
	v_mul_f32_dpp v240, v252, v128 quad_perm:[0,0,0,0] row_mask:0xf bank_mask:0xf// 000000017538: 0BE100FA FF0000FC
	v_mul_f32_dpp v241, v252, v129 quad_perm:[1,1,1,1] row_mask:0xf bank_mask:0xf// 000000017540: 0BE302FA FF0055FC
	v_mul_f32_dpp v242, v252, v130 quad_perm:[2,2,2,2] row_mask:0xf bank_mask:0xf// 000000017548: 0BE504FA FF00AAFC
	v_mul_f32_dpp v243, v252, v131 quad_perm:[3,3,3,3] row_mask:0xf bank_mask:0xf// 000000017550: 0BE706FA FF00FFFC
	v_mul_f32_dpp v244, v253, v132 quad_perm:[0,0,0,0] row_mask:0xf bank_mask:0xf// 000000017558: 0BE908FA FF0000FD
	v_mul_f32_dpp v245, v253, v133 quad_perm:[1,1,1,1] row_mask:0xf bank_mask:0xf// 000000017560: 0BEB0AFA FF0055FD
	v_mul_f32_dpp v246, v253, v134 quad_perm:[2,2,2,2] row_mask:0xf bank_mask:0xf// 000000017568: 0BED0CFA FF00AAFD
	v_mul_f32_dpp v247, v253, v135 quad_perm:[3,3,3,3] row_mask:0xf bank_mask:0xf// 000000017570: 0BEF0EFA FF00FFFD
	v_mul_f32_dpp v248, v254, v136 quad_perm:[0,0,0,0] row_mask:0xf bank_mask:0xf// 000000017578: 0BF110FA FF0000FE
	v_mul_f32_dpp v249, v254, v137 quad_perm:[1,1,1,1] row_mask:0xf bank_mask:0xf// 000000017580: 0BF312FA FF0055FE
	v_mul_f32_dpp v250, v254, v138 quad_perm:[2,2,2,2] row_mask:0xf bank_mask:0xf// 000000017588: 0BF514FA FF00AAFE
	v_mul_f32_dpp v251, v254, v139 quad_perm:[3,3,3,3] row_mask:0xf bank_mask:0xf// 000000017590: 0BF716FA FF00FFFE
	v_mul_f32_dpp v252, v255, v140 quad_perm:[0,0,0,0] row_mask:0xf bank_mask:0xf// 000000017598: 0BF918FA FF0000FF
	v_mul_f32_dpp v253, v255, v141 quad_perm:[1,1,1,1] row_mask:0xf bank_mask:0xf// 0000000175A0: 0BFB1AFA FF0055FF
	v_mul_f32_dpp v254, v255, v142 quad_perm:[2,2,2,2] row_mask:0xf bank_mask:0xf// 0000000175A8: 0BFD1CFA FF00AAFF
	v_mul_f32_dpp v255, v255, v143 quad_perm:[3,3,3,3] row_mask:0xf bank_mask:0xf// 0000000175B0: 0BFF1EFA FF00FFFF
	v_mov_b32_e32 v48, 0x358637bd                              // 0000000175B8: 7E6002FF 358637BD
	v_max3_f32 v48, |v240|, |v241|, v48                        // 0000000175C0: D1D30330 04C3E3F0
	v_max3_f32 v48, |v242|, |v243|, v48                        // 0000000175C8: D1D30330 04C3E7F2
	v_max3_f32 v48, |v244|, |v245|, v48                        // 0000000175D0: D1D30330 04C3EBF4
	v_max3_f32 v48, |v246|, |v247|, v48                        // 0000000175D8: D1D30330 04C3EFF6
	v_max3_f32 v48, |v248|, |v249|, v48                        // 0000000175E0: D1D30330 04C3F3F8
	v_max3_f32 v48, |v250|, |v251|, v48                        // 0000000175E8: D1D30330 04C3F7FA
	v_max3_f32 v48, |v252|, |v253|, v48                        // 0000000175F0: D1D30330 04C3FBFC
	v_max3_f32 v48, |v254|, |v255|, v48                        // 0000000175F8: D1D30330 04C3FFFE
	ds_write_b32 v8, v48 offset:20992                          // 000000017600: D81A5200 00003008
	v_sub_f32_e32 v50, v12, v15                                // 000000017608: 04641F0C
	v_cndmask_b32_e64 v50, v50, 0, s[40:41]                    // 00000001760C: D1000032 00A10132
	v_mov_b32_e32 v12, v15                                     // 000000017614: 7E18030F
	v_mul_f32_e32 v50, s64, v50                                // 000000017618: 0A646440
	v_exp_f32_e32 v50, v50                                     // 00000001761C: 7E644132
	s_waitcnt lgkmcnt(0)                                       // 000000017620: BF8CC07F
	s_barrier                                                  // 000000017624: BF8A0000
	ds_read_b32 v64, v7 offset:20992                           // 000000017628: D86C5200 40000007
	ds_read_b32 v65, v7 offset:21056                           // 000000017630: D86C5240 41000007
	ds_read_b32 v66, v7 offset:21120                           // 000000017638: D86C5280 42000007
	ds_read_b32 v67, v7 offset:21184                           // 000000017640: D86C52C0 43000007
	ds_read_b32 v68, v7 offset:21248                           // 000000017648: D86C5300 44000007
	ds_read_b32 v69, v7 offset:21312                           // 000000017650: D86C5340 45000007
	ds_read_b32 v70, v7 offset:21376                           // 000000017658: D86C5380 46000007
	ds_read_b32 v71, v7 offset:21440                           // 000000017660: D86C53C0 47000007
	ds_read_b32 v72, v7 offset:21504                           // 000000017668: D86C5400 48000007
	ds_read_b32 v73, v7 offset:21568                           // 000000017670: D86C5440 49000007
	ds_read_b32 v74, v7 offset:21632                           // 000000017678: D86C5480 4A000007
	ds_read_b32 v75, v7 offset:21696                           // 000000017680: D86C54C0 4B000007
	ds_read_b32 v76, v7 offset:21760                           // 000000017688: D86C5500 4C000007
	ds_read_b32 v77, v7 offset:21824                           // 000000017690: D86C5540 4D000007
	ds_read_b32 v78, v7 offset:21888                           // 000000017698: D86C5580 4E000007
	ds_read_b32 v79, v7 offset:21952                           // 0000000176A0: D86C55C0 4F000007
	v_mul_f32_e32 v39, v50, v39                                // 0000000176A8: 0A4E4F32
	v_mov_b32_e32 v15, v128                                    // 0000000176AC: 7E1E0380
	v_add_f32_e32 v15, v129, v15                               // 0000000176B0: 021E1F81
	v_add_f32_e32 v15, v130, v15                               // 0000000176B4: 021E1F82
	v_add_f32_e32 v15, v131, v15                               // 0000000176B8: 021E1F83
	v_add_f32_e32 v15, v132, v15                               // 0000000176BC: 021E1F84
	v_add_f32_e32 v15, v133, v15                               // 0000000176C0: 021E1F85
	v_add_f32_e32 v15, v134, v15                               // 0000000176C4: 021E1F86
	v_add_f32_e32 v15, v135, v15                               // 0000000176C8: 021E1F87
	v_add_f32_e32 v15, v136, v15                               // 0000000176CC: 021E1F88
	v_add_f32_e32 v15, v137, v15                               // 0000000176D0: 021E1F89
	v_add_f32_e32 v15, v138, v15                               // 0000000176D4: 021E1F8A
	v_add_f32_e32 v15, v139, v15                               // 0000000176D8: 021E1F8B
	v_add_f32_e32 v15, v140, v15                               // 0000000176DC: 021E1F8C
	v_add_f32_e32 v15, v141, v15                               // 0000000176E0: 021E1F8D
	v_add_f32_e32 v15, v142, v15                               // 0000000176E4: 021E1F8E
	v_add_f32_e32 v15, v143, v15                               // 0000000176E8: 021E1F8F
	v_add_f32_e32 v39, v15, v39                                // 0000000176EC: 024E4F0F
	s_waitcnt lgkmcnt(0)                                       // 0000000176F0: BF8CC07F
	v_max3_f32 v48, |v64|, |v65|, v48                          // 0000000176F4: D1D30330 04C28340
	v_max3_f32 v48, |v66|, |v67|, v48                          // 0000000176FC: D1D30330 04C28742
	v_max3_f32 v48, |v68|, |v69|, v48                          // 000000017704: D1D30330 04C28B44
	v_max3_f32 v48, |v70|, |v71|, v48                          // 00000001770C: D1D30330 04C28F46
	v_max3_f32 v48, |v72|, |v73|, v48                          // 000000017714: D1D30330 04C29348
	v_max3_f32 v48, |v74|, |v75|, v48                          // 00000001771C: D1D30330 04C2974A
	v_max3_f32 v48, |v76|, |v77|, v48                          // 000000017724: D1D30330 04C29B4C
	v_max3_f32 v48, |v78|, |v79|, v48                          // 00000001772C: D1D30330 04C29F4E
	s_nop 2                                                    // 000000017734: BF800002
	v_rcp_f32_e32 v48, v48                                     // 000000017738: 7E604530
	s_nop 1                                                    // 00000001773C: BF800001
	v_mul_f32_e32 v48, 0x43700000, v48                         // 000000017740: 0A6060FF 43700000
	v_mul_f32_e32 v128, v48, v240                              // 000000017748: 0B01E130
	v_mul_f32_e32 v129, v48, v241                              // 00000001774C: 0B03E330
	v_mul_f32_e32 v130, v48, v242                              // 000000017750: 0B05E530
	v_mul_f32_e32 v131, v48, v243                              // 000000017754: 0B07E730
	v_mul_f32_e32 v132, v48, v244                              // 000000017758: 0B09E930
	v_mul_f32_e32 v133, v48, v245                              // 00000001775C: 0B0BEB30
	v_mul_f32_e32 v134, v48, v246                              // 000000017760: 0B0DED30
	v_mul_f32_e32 v135, v48, v247                              // 000000017764: 0B0FEF30
	v_mul_f32_e32 v136, v48, v248                              // 000000017768: 0B11F130
	v_mul_f32_e32 v137, v48, v249                              // 00000001776C: 0B13F330
	v_mul_f32_e32 v138, v48, v250                              // 000000017770: 0B15F530
	v_mul_f32_e32 v139, v48, v251                              // 000000017774: 0B17F730
	v_mul_f32_e32 v140, v48, v252                              // 000000017778: 0B19F930
	v_mul_f32_e32 v141, v48, v253                              // 00000001777C: 0B1BFB30
	v_mul_f32_e32 v142, v48, v254                              // 000000017780: 0B1DFD30
	v_mul_f32_e32 v143, v48, v255                              // 000000017784: 0B1FFF30
	v_cvt_pk_fp8_f32 v128, v128, v129                          // 000000017788: D2A20080 00030380
	v_cvt_pk_fp8_f32 v128, v130, v131 op_sel:[0,0,1]           // 000000017790: D2A24080 00030782
	v_cvt_pk_fp8_f32 v129, v132, v133                          // 000000017798: D2A20081 00030B84
	v_cvt_pk_fp8_f32 v129, v134, v135 op_sel:[0,0,1]           // 0000000177A0: D2A24081 00030F86
	v_cvt_pk_fp8_f32 v130, v136, v137                          // 0000000177A8: D2A20082 00031388
	v_cvt_pk_fp8_f32 v130, v138, v139 op_sel:[0,0,1]           // 0000000177B0: D2A24082 0003178A
	v_cvt_pk_fp8_f32 v131, v140, v141                          // 0000000177B8: D2A20083 00031B8C
	v_cvt_pk_fp8_f32 v131, v142, v143 op_sel:[0,0,1]           // 0000000177C0: D2A24083 00031F8E
	ds_write_b32 v10, v128 offset:29184                        // 0000000177C8: D81A7200 0000800A
	ds_write_b32 v10, v129 offset:30208                        // 0000000177D0: D81A7600 0000810A
	ds_write_b32 v10, v130 offset:31232                        // 0000000177D8: D81A7A00 0000820A
	ds_write_b32 v10, v131 offset:32256                        // 0000000177E0: D81A7E00 0000830A
	v_add_f32_e32 v216, v216, v184                             // 0000000177E8: 03B171D8
	v_add_f32_e32 v217, v217, v185                             // 0000000177EC: 03B373D9
	v_add_f32_e32 v218, v218, v186                             // 0000000177F0: 03B575DA
	v_add_f32_e32 v219, v219, v187                             // 0000000177F4: 03B777DB
	v_add_f32_e32 v220, v220, v188                             // 0000000177F8: 03B979DC
	v_add_f32_e32 v221, v221, v189                             // 0000000177FC: 03BB7BDD
	v_add_f32_e32 v222, v222, v190                             // 000000017800: 03BD7DDE
	v_add_f32_e32 v223, v223, v191                             // 000000017804: 03BF7FDF
	v_rcp_f32_e32 v45, v48                                     // 000000017808: 7E5A4530
	s_waitcnt lgkmcnt(0)                                       // 00000001780C: BF8CC07F
	s_barrier                                                  // 000000017810: BF8A0000
	ds_read_b64 v[128:129], v9 offset:29184                    // 000000017814: D8EC7200 80000009
	ds_read_b64 v[130:131], v9 offset:29312                    // 00000001781C: D8EC7280 82000009
	ds_read_b64 v[132:133], v9 offset:30208                    // 000000017824: D8EC7600 84000009
	ds_read_b64 v[134:135], v9 offset:30336                    // 00000001782C: D8EC7680 86000009
	ds_read_b64 v[136:137], v9 offset:31232                    // 000000017834: D8EC7A00 88000009
	ds_read_b64 v[138:139], v9 offset:31360                    // 00000001783C: D8EC7A80 8A000009
	ds_read_b64 v[140:141], v9 offset:32256                    // 000000017844: D8EC7E00 8C000009
	ds_read_b64 v[142:143], v9 offset:32384                    // 00000001784C: D8EC7E80 8E000009
	v_mov_b32_dpp v64, v43 row_shr:4 row_mask:0xf bank_mask:0xf// 000000017854: 7E8002FA FF01142B
	v_mov_b32_dpp v65, v43 row_shl:4 row_mask:0xf bank_mask:0xf// 00000001785C: 7E8202FA FF01042B
	v_cndmask_b32_e64 v248, v43, v64, s[44:45]                 // 000000017864: D10000F8 00B2812B
	v_cndmask_b32_e64 v249, v65, v43, s[44:45]                 // 00000001786C: D10000F9 00B25741
	v_mov_b32_dpp v64, v248 row_shr:8 row_mask:0xf bank_mask:0xf// 000000017874: 7E8002FA FF0118F8
	v_mov_b32_dpp v65, v248 row_shl:8 row_mask:0xf bank_mask:0xf// 00000001787C: 7E8202FA FF0108F8
	v_mov_b32_dpp v66, v249 row_shr:8 row_mask:0xf bank_mask:0xf// 000000017884: 7E8402FA FF0118F9
	v_mov_b32_dpp v67, v249 row_shl:8 row_mask:0xf bank_mask:0xf// 00000001788C: 7E8602FA FF0108F9
	v_mov_b32_e32 v68, v248                                    // 000000017894: 7E8803F8
	v_mov_b32_e32 v69, v249                                    // 000000017898: 7E8A03F9
	v_cndmask_b32_e64 v248, v68, v64, s[42:43]                 // 00000001789C: D10000F8 00AA8144
	v_cndmask_b32_e64 v250, v68, v65, s[78:79]                 // 0000000178A4: D10000FA 013A8344
	v_cndmask_b32_e64 v249, v69, v66, s[42:43]                 // 0000000178AC: D10000F9 00AA8545
	v_cndmask_b32_e64 v251, v69, v67, s[78:79]                 // 0000000178B4: D10000FB 013A8745
	v_mov_b32_dpp v64, v58 row_shr:4 row_mask:0xf bank_mask:0xf// 0000000178BC: 7E8002FA FF01143A
	v_mov_b32_dpp v65, v58 row_shl:4 row_mask:0xf bank_mask:0xf// 0000000178C4: 7E8202FA FF01043A
	v_cndmask_b32_e64 v252, v58, v64, s[44:45]                 // 0000000178CC: D10000FC 00B2813A
	v_cndmask_b32_e64 v253, v65, v58, s[44:45]                 // 0000000178D4: D10000FD 00B27541
	v_mov_b32_dpp v64, v252 row_shr:8 row_mask:0xf bank_mask:0xf// 0000000178DC: 7E8002FA FF0118FC
	v_mov_b32_dpp v65, v252 row_shl:8 row_mask:0xf bank_mask:0xf// 0000000178E4: 7E8202FA FF0108FC
	v_mov_b32_dpp v66, v253 row_shr:8 row_mask:0xf bank_mask:0xf// 0000000178EC: 7E8402FA FF0118FD
	v_mov_b32_dpp v67, v253 row_shl:8 row_mask:0xf bank_mask:0xf// 0000000178F4: 7E8602FA FF0108FD
	v_mov_b32_e32 v68, v252                                    // 0000000178FC: 7E8803FC
	v_mov_b32_e32 v69, v253                                    // 000000017900: 7E8A03FD
	v_cndmask_b32_e64 v252, v68, v64, s[42:43]                 // 000000017904: D10000FC 00AA8144
	v_cndmask_b32_e64 v254, v68, v65, s[78:79]                 // 00000001790C: D10000FE 013A8344
	v_cndmask_b32_e64 v253, v69, v66, s[42:43]                 // 000000017914: D10000FD 00AA8545
	v_cndmask_b32_e64 v255, v69, v67, s[78:79]                 // 00000001791C: D10000FF 013A8745
	v_mul_f32_e32 v144, v20, v144                              // 000000017924: 0B212114
	v_mul_f32_e32 v145, v20, v145                              // 000000017928: 0B232314
	v_mul_f32_e32 v146, v20, v146                              // 00000001792C: 0B252514
	v_mul_f32_e32 v147, v20, v147                              // 000000017930: 0B272714
	v_mul_f32_e32 v148, v20, v148                              // 000000017934: 0B292914
	v_mul_f32_e32 v149, v20, v149                              // 000000017938: 0B2B2B14
	v_mul_f32_e32 v150, v20, v150                              // 00000001793C: 0B2D2D14
	v_mul_f32_e32 v151, v20, v151                              // 000000017940: 0B2F2F14
	v_mul_f32_e32 v152, v20, v152                              // 000000017944: 0B313114
	v_mul_f32_e32 v153, v20, v153                              // 000000017948: 0B333314
	v_mul_f32_e32 v154, v20, v154                              // 00000001794C: 0B353514
	v_mul_f32_e32 v155, v20, v155                              // 000000017950: 0B373714
	v_mul_f32_e32 v156, v20, v156                              // 000000017954: 0B393914
	v_mul_f32_e32 v157, v20, v157                              // 000000017958: 0B3B3B14
	v_mul_f32_e32 v158, v20, v158                              // 00000001795C: 0B3D3D14
	v_mul_f32_e32 v159, v20, v159                              // 000000017960: 0B3F3F14
	v_mul_f32_dpp v144, v248, v144 quad_perm:[0,0,0,0] row_mask:0xf bank_mask:0xf// 000000017964: 0B2120FA FF0000F8
	v_mul_f32_dpp v145, v248, v145 quad_perm:[1,1,1,1] row_mask:0xf bank_mask:0xf// 00000001796C: 0B2322FA FF0055F8
	v_mul_f32_dpp v146, v248, v146 quad_perm:[2,2,2,2] row_mask:0xf bank_mask:0xf// 000000017974: 0B2524FA FF00AAF8
	v_mul_f32_dpp v147, v248, v147 quad_perm:[3,3,3,3] row_mask:0xf bank_mask:0xf// 00000001797C: 0B2726FA FF00FFF8
	v_mul_f32_dpp v148, v249, v148 quad_perm:[0,0,0,0] row_mask:0xf bank_mask:0xf// 000000017984: 0B2928FA FF0000F9
	v_mul_f32_dpp v149, v249, v149 quad_perm:[1,1,1,1] row_mask:0xf bank_mask:0xf// 00000001798C: 0B2B2AFA FF0055F9
	v_mul_f32_dpp v150, v249, v150 quad_perm:[2,2,2,2] row_mask:0xf bank_mask:0xf// 000000017994: 0B2D2CFA FF00AAF9
	v_mul_f32_dpp v151, v249, v151 quad_perm:[3,3,3,3] row_mask:0xf bank_mask:0xf// 00000001799C: 0B2F2EFA FF00FFF9
	v_mul_f32_dpp v152, v250, v152 quad_perm:[0,0,0,0] row_mask:0xf bank_mask:0xf// 0000000179A4: 0B3130FA FF0000FA
	v_mul_f32_dpp v153, v250, v153 quad_perm:[1,1,1,1] row_mask:0xf bank_mask:0xf// 0000000179AC: 0B3332FA FF0055FA
	v_mul_f32_dpp v154, v250, v154 quad_perm:[2,2,2,2] row_mask:0xf bank_mask:0xf// 0000000179B4: 0B3534FA FF00AAFA
	v_mul_f32_dpp v155, v250, v155 quad_perm:[3,3,3,3] row_mask:0xf bank_mask:0xf// 0000000179BC: 0B3736FA FF00FFFA
	v_mul_f32_dpp v156, v251, v156 quad_perm:[0,0,0,0] row_mask:0xf bank_mask:0xf// 0000000179C4: 0B3938FA FF0000FB
	v_mul_f32_dpp v157, v251, v157 quad_perm:[1,1,1,1] row_mask:0xf bank_mask:0xf// 0000000179CC: 0B3B3AFA FF0055FB
	v_mul_f32_dpp v158, v251, v158 quad_perm:[2,2,2,2] row_mask:0xf bank_mask:0xf// 0000000179D4: 0B3D3CFA FF00AAFB
	v_mul_f32_dpp v159, v251, v159 quad_perm:[3,3,3,3] row_mask:0xf bank_mask:0xf// 0000000179DC: 0B3F3EFA FF00FFFB
	s_cmp_le_i32 s90, s89                                      // 0000000179E4: BF05595A
	s_cbranch_scc1 label_566C                                  // 0000000179E8: BF850071
	v_mov_b32_e32 v66, 0xff800000                              // 0000000179EC: 7E8402FF FF800000
	s_mov_b32 s60, s90                                         // 0000000179F4: BEBC005A
	s_add_u32 s61, s89, 0xff                                   // 0000000179F8: 803DFF59 000000FF
	v_mov_b32_e32 v64, s61                                     // 000000017A00: 7E80023D
	v_lshrrev_b32_e32 v240, 4, v0                              // 000000017A04: 21E00084
	v_mul_i32_i24_e32 v240, 4, v240                            // 000000017A08: 0DE1E084
	v_add_u32_e32 v240, s60, v240                              // 000000017A0C: 69E1E03C
	s_mov_b32 s61, 2                                           // 000000017A10: BEBD0082
	s_mul_i32 s60, 16, s7                                      // 000000017A14: 923C0790
	v_sub_u32_e64 v240, v240, s61                              // 000000017A18: D13500F0 00007BF0
	v_add_u32_e32 v240, s60, v240                              // 000000017A20: 69E1E03C
	v_add_u32_e32 v241, 1, v240                                // 000000017A24: 69E3E081
	v_add_u32_e32 v242, 2, v240                                // 000000017A28: 69E5E082
	v_add_u32_e32 v243, 3, v240                                // 000000017A2C: 69E7E083
	v_cmp_le_u32_e64 s[40:41], v240, v64                       // 000000017A30: D0CB0028 000281F0
	v_add_u32_e32 v240, 64, v240                               // 000000017A38: 69E1E0C0
	s_nop 0                                                    // 000000017A3C: BF800000
	v_cndmask_b32_e64 v144, v66, v144, s[40:41]                // 000000017A40: D1000090 00A32142
	v_cmp_le_u32_e64 s[40:41], v241, v64                       // 000000017A48: D0CB0028 000281F1
	v_add_u32_e32 v241, 64, v241                               // 000000017A50: 69E3E2C0
	s_nop 0                                                    // 000000017A54: BF800000
	v_cndmask_b32_e64 v145, v66, v145, s[40:41]                // 000000017A58: D1000091 00A32342
	v_cmp_le_u32_e64 s[40:41], v242, v64                       // 000000017A60: D0CB0028 000281F2
	v_add_u32_e32 v242, 64, v242                               // 000000017A68: 69E5E4C0
	s_nop 0                                                    // 000000017A6C: BF800000
	v_cndmask_b32_e64 v146, v66, v146, s[40:41]                // 000000017A70: D1000092 00A32542
	v_cmp_le_u32_e64 s[40:41], v243, v64                       // 000000017A78: D0CB0028 000281F3
	v_add_u32_e32 v243, 64, v243                               // 000000017A80: 69E7E6C0
	s_nop 0                                                    // 000000017A84: BF800000
	v_cndmask_b32_e64 v147, v66, v147, s[40:41]                // 000000017A88: D1000093 00A32742
	v_cmp_le_u32_e64 s[40:41], v240, v64                       // 000000017A90: D0CB0028 000281F0
	v_add_u32_e32 v240, 64, v240                               // 000000017A98: 69E1E0C0
	s_nop 0                                                    // 000000017A9C: BF800000
	v_cndmask_b32_e64 v148, v66, v148, s[40:41]                // 000000017AA0: D1000094 00A32942
	v_cmp_le_u32_e64 s[40:41], v241, v64                       // 000000017AA8: D0CB0028 000281F1
	v_add_u32_e32 v241, 64, v241                               // 000000017AB0: 69E3E2C0
	s_nop 0                                                    // 000000017AB4: BF800000
	v_cndmask_b32_e64 v149, v66, v149, s[40:41]                // 000000017AB8: D1000095 00A32B42
	v_cmp_le_u32_e64 s[40:41], v242, v64                       // 000000017AC0: D0CB0028 000281F2
	v_add_u32_e32 v242, 64, v242                               // 000000017AC8: 69E5E4C0
	s_nop 0                                                    // 000000017ACC: BF800000
	v_cndmask_b32_e64 v150, v66, v150, s[40:41]                // 000000017AD0: D1000096 00A32D42
	v_cmp_le_u32_e64 s[40:41], v243, v64                       // 000000017AD8: D0CB0028 000281F3
	v_add_u32_e32 v243, 64, v243                               // 000000017AE0: 69E7E6C0
	s_nop 0                                                    // 000000017AE4: BF800000
	v_cndmask_b32_e64 v151, v66, v151, s[40:41]                // 000000017AE8: D1000097 00A32F42
	v_cmp_le_u32_e64 s[40:41], v240, v64                       // 000000017AF0: D0CB0028 000281F0
	v_add_u32_e32 v240, 64, v240                               // 000000017AF8: 69E1E0C0
	s_nop 0                                                    // 000000017AFC: BF800000
	v_cndmask_b32_e64 v152, v66, v152, s[40:41]                // 000000017B00: D1000098 00A33142
	v_cmp_le_u32_e64 s[40:41], v241, v64                       // 000000017B08: D0CB0028 000281F1
	v_add_u32_e32 v241, 64, v241                               // 000000017B10: 69E3E2C0
	s_nop 0                                                    // 000000017B14: BF800000
	v_cndmask_b32_e64 v153, v66, v153, s[40:41]                // 000000017B18: D1000099 00A33342
	v_cmp_le_u32_e64 s[40:41], v242, v64                       // 000000017B20: D0CB0028 000281F2
	v_add_u32_e32 v242, 64, v242                               // 000000017B28: 69E5E4C0
	s_nop 0                                                    // 000000017B2C: BF800000
	v_cndmask_b32_e64 v154, v66, v154, s[40:41]                // 000000017B30: D100009A 00A33542
	v_cmp_le_u32_e64 s[40:41], v243, v64                       // 000000017B38: D0CB0028 000281F3
	v_add_u32_e32 v243, 64, v243                               // 000000017B40: 69E7E6C0
	s_nop 0                                                    // 000000017B44: BF800000
	v_cndmask_b32_e64 v155, v66, v155, s[40:41]                // 000000017B48: D100009B 00A33742
	v_cmp_le_u32_e64 s[40:41], v240, v64                       // 000000017B50: D0CB0028 000281F0
	v_add_u32_e32 v240, 64, v240                               // 000000017B58: 69E1E0C0
	s_nop 0                                                    // 000000017B5C: BF800000
	v_cndmask_b32_e64 v156, v66, v156, s[40:41]                // 000000017B60: D100009C 00A33942
	v_cmp_le_u32_e64 s[40:41], v241, v64                       // 000000017B68: D0CB0028 000281F1
	v_add_u32_e32 v241, 64, v241                               // 000000017B70: 69E3E2C0
	s_nop 0                                                    // 000000017B74: BF800000
	v_cndmask_b32_e64 v157, v66, v157, s[40:41]                // 000000017B78: D100009D 00A33B42
	v_cmp_le_u32_e64 s[40:41], v242, v64                       // 000000017B80: D0CB0028 000281F2
	v_add_u32_e32 v242, 64, v242                               // 000000017B88: 69E5E4C0
	s_nop 0                                                    // 000000017B8C: BF800000
	v_cndmask_b32_e64 v158, v66, v158, s[40:41]                // 000000017B90: D100009E 00A33D42
	v_cmp_le_u32_e64 s[40:41], v243, v64                       // 000000017B98: D0CB0028 000281F3
	v_add_u32_e32 v243, 64, v243                               // 000000017BA0: 69E7E6C0
	s_nop 0                                                    // 000000017BA4: BF800000
	v_cndmask_b32_e64 v159, v66, v159, s[40:41]                // 000000017BA8: D100009F 00A33F42

0000000000017bb0 <label_566C>:
	s_add_u32 s90, s91, s90                                    // 000000017BB0: 805A5A5B
	v_mov_b32_e32 v48, v144                                    // 000000017BB4: 7E600390
	v_max3_f32 v48, v144, v145, v48                            // 000000017BB8: D1D30030 04C32390
	v_max3_f32 v48, v146, v147, v48                            // 000000017BC0: D1D30030 04C32792
	v_max3_f32 v48, v148, v149, v48                            // 000000017BC8: D1D30030 04C32B94
	v_max3_f32 v48, v150, v151, v48                            // 000000017BD0: D1D30030 04C32F96
	v_max3_f32 v48, v152, v153, v48                            // 000000017BD8: D1D30030 04C33398
	v_max3_f32 v48, v154, v155, v48                            // 000000017BE0: D1D30030 04C3379A
	v_max3_f32 v48, v156, v157, v48                            // 000000017BE8: D1D30030 04C33B9C
	v_max3_f32 v48, v158, v159, v48                            // 000000017BF0: D1D30030 04C33F9E
	ds_write_b32 v8, v48 offset:16896                          // 000000017BF8: D81A4200 00003008
	v_mul_f32_e32 v224, v51, v224                              // 000000017C00: 0BC1C133
	v_mul_f32_e32 v225, v51, v225                              // 000000017C04: 0BC3C333
	v_mul_f32_e32 v226, v51, v226                              // 000000017C08: 0BC5C533
	v_mul_f32_e32 v227, v51, v227                              // 000000017C0C: 0BC7C733
	v_mul_f32_e32 v228, v51, v228                              // 000000017C10: 0BC9C933
	v_mul_f32_e32 v229, v51, v229                              // 000000017C14: 0BCBCB33
	v_mul_f32_e32 v230, v51, v230                              // 000000017C18: 0BCDCD33
	v_mul_f32_e32 v231, v51, v231                              // 000000017C1C: 0BCFCF33
	s_waitcnt lgkmcnt(0)                                       // 000000017C20: BF8CC07F
	s_barrier                                                  // 000000017C24: BF8A0000
	ds_read_b32 v64, v7 offset:16896                           // 000000017C28: D86C4200 40000007
	ds_read_b32 v65, v7 offset:16960                           // 000000017C30: D86C4240 41000007
	ds_read_b32 v66, v7 offset:17024                           // 000000017C38: D86C4280 42000007
	ds_read_b32 v67, v7 offset:17088                           // 000000017C40: D86C42C0 43000007
	ds_read_b32 v68, v7 offset:17152                           // 000000017C48: D86C4300 44000007
	ds_read_b32 v69, v7 offset:17216                           // 000000017C50: D86C4340 45000007
	ds_read_b32 v70, v7 offset:17280                           // 000000017C58: D86C4380 46000007
	ds_read_b32 v71, v7 offset:17344                           // 000000017C60: D86C43C0 47000007
	ds_read_b32 v72, v7 offset:17408                           // 000000017C68: D86C4400 48000007
	ds_read_b32 v73, v7 offset:17472                           // 000000017C70: D86C4440 49000007
	ds_read_b32 v74, v7 offset:17536                           // 000000017C78: D86C4480 4A000007
	ds_read_b32 v75, v7 offset:17600                           // 000000017C80: D86C44C0 4B000007
	ds_read_b32 v76, v7 offset:17664                           // 000000017C88: D86C4500 4C000007
	ds_read_b32 v77, v7 offset:17728                           // 000000017C90: D86C4540 4D000007
	ds_read_b32 v78, v7 offset:17792                           // 000000017C98: D86C4580 4E000007
	ds_read_b32 v79, v7 offset:17856                           // 000000017CA0: D86C45C0 4F000007
	v_mul_f32_e32 v192, v46, v192                              // 000000017CA8: 0B81812E
	v_mul_f32_e32 v193, v46, v193                              // 000000017CAC: 0B83832E
	v_mul_f32_e32 v194, v46, v194                              // 000000017CB0: 0B85852E
	v_mul_f32_e32 v195, v46, v195                              // 000000017CB4: 0B87872E
	v_mul_f32_e32 v196, v46, v196                              // 000000017CB8: 0B89892E
	v_mul_f32_e32 v197, v46, v197                              // 000000017CBC: 0B8B8B2E
	v_mul_f32_e32 v198, v46, v198                              // 000000017CC0: 0B8D8D2E
	v_mul_f32_e32 v199, v46, v199                              // 000000017CC4: 0B8F8F2E
	s_waitcnt lgkmcnt(0)                                       // 000000017CC8: BF8CC07F
	v_max3_f32 v48, v64, v65, v48                              // 000000017CCC: D1D30030 04C28340
	v_max3_f32 v48, v66, v67, v48                              // 000000017CD4: D1D30030 04C28742
	v_max3_f32 v48, v68, v69, v48                              // 000000017CDC: D1D30030 04C28B44
	v_max3_f32 v48, v70, v71, v48                              // 000000017CE4: D1D30030 04C28F46
	v_max3_f32 v48, v72, v73, v48                              // 000000017CEC: D1D30030 04C29348
	v_max3_f32 v48, v74, v75, v48                              // 000000017CF4: D1D30030 04C2974A
	v_max3_f32 v48, v76, v77, v48                              // 000000017CFC: D1D30030 04C29B4C
	v_max3_f32 v48, v78, v79, v48                              // 000000017D04: D1D30030 04C29F4E
	v_mov_b32_e32 v64, 0xff800000                              // 000000017D0C: 7E8002FF FF800000
	v_cmp_eq_u32_e64 s[40:41], v64, v13                        // 000000017D14: D0CA0028 00021B40
	s_nop 1                                                    // 000000017D1C: BF800001
	v_max_f32_e32 v15, v48, v13                                // 000000017D20: 161E1B30
	v_mul_f32_e32 v53, s64, v15                                // 000000017D24: 0A6A1E40
	v_fma_f32 v144, v144, s64, -v53                            // 000000017D28: D1CB0090 84D48190
	v_fma_f32 v145, v145, s64, -v53                            // 000000017D30: D1CB0091 84D48191
	v_fma_f32 v146, v146, s64, -v53                            // 000000017D38: D1CB0092 84D48192
	v_fma_f32 v147, v147, s64, -v53                            // 000000017D40: D1CB0093 84D48193
	v_fma_f32 v148, v148, s64, -v53                            // 000000017D48: D1CB0094 84D48194
	v_fma_f32 v149, v149, s64, -v53                            // 000000017D50: D1CB0095 84D48195
	v_fma_f32 v150, v150, s64, -v53                            // 000000017D58: D1CB0096 84D48196
	v_fma_f32 v151, v151, s64, -v53                            // 000000017D60: D1CB0097 84D48197
	v_fma_f32 v152, v152, s64, -v53                            // 000000017D68: D1CB0098 84D48198
	v_fma_f32 v153, v153, s64, -v53                            // 000000017D70: D1CB0099 84D48199
	v_fma_f32 v154, v154, s64, -v53                            // 000000017D78: D1CB009A 84D4819A
	v_fma_f32 v155, v155, s64, -v53                            // 000000017D80: D1CB009B 84D4819B
	v_fma_f32 v156, v156, s64, -v53                            // 000000017D88: D1CB009C 84D4819C
	v_fma_f32 v157, v157, s64, -v53                            // 000000017D90: D1CB009D 84D4819D
	v_fma_f32 v158, v158, s64, -v53                            // 000000017D98: D1CB009E 84D4819E
	v_fma_f32 v159, v159, s64, -v53                            // 000000017DA0: D1CB009F 84D4819F
	v_exp_f32_e32 v144, v144                                   // 000000017DA8: 7F204190
	v_exp_f32_e32 v145, v145                                   // 000000017DAC: 7F224191
	v_exp_f32_e32 v146, v146                                   // 000000017DB0: 7F244192
	v_exp_f32_e32 v147, v147                                   // 000000017DB4: 7F264193
	v_exp_f32_e32 v148, v148                                   // 000000017DB8: 7F284194
	v_exp_f32_e32 v149, v149                                   // 000000017DBC: 7F2A4195
	v_exp_f32_e32 v150, v150                                   // 000000017DC0: 7F2C4196
	v_exp_f32_e32 v151, v151                                   // 000000017DC4: 7F2E4197
	v_exp_f32_e32 v152, v152                                   // 000000017DC8: 7F304198
	v_exp_f32_e32 v153, v153                                   // 000000017DCC: 7F324199
	v_exp_f32_e32 v154, v154                                   // 000000017DD0: 7F34419A
	v_exp_f32_e32 v155, v155                                   // 000000017DD4: 7F36419B
	v_exp_f32_e32 v156, v156                                   // 000000017DD8: 7F38419C
	v_exp_f32_e32 v157, v157                                   // 000000017DDC: 7F3A419D
	v_exp_f32_e32 v158, v158                                   // 000000017DE0: 7F3C419E
	v_exp_f32_e32 v159, v159                                   // 000000017DE4: 7F3E419F
	v_mul_f32_dpp v240, v252, v144 quad_perm:[0,0,0,0] row_mask:0xf bank_mask:0xf// 000000017DE8: 0BE120FA FF0000FC
	v_mul_f32_dpp v241, v252, v145 quad_perm:[1,1,1,1] row_mask:0xf bank_mask:0xf// 000000017DF0: 0BE322FA FF0055FC
	v_mul_f32_dpp v242, v252, v146 quad_perm:[2,2,2,2] row_mask:0xf bank_mask:0xf// 000000017DF8: 0BE524FA FF00AAFC
	v_mul_f32_dpp v243, v252, v147 quad_perm:[3,3,3,3] row_mask:0xf bank_mask:0xf// 000000017E00: 0BE726FA FF00FFFC
	v_mul_f32_dpp v244, v253, v148 quad_perm:[0,0,0,0] row_mask:0xf bank_mask:0xf// 000000017E08: 0BE928FA FF0000FD
	v_mul_f32_dpp v245, v253, v149 quad_perm:[1,1,1,1] row_mask:0xf bank_mask:0xf// 000000017E10: 0BEB2AFA FF0055FD
	v_mul_f32_dpp v246, v253, v150 quad_perm:[2,2,2,2] row_mask:0xf bank_mask:0xf// 000000017E18: 0BED2CFA FF00AAFD
	v_mul_f32_dpp v247, v253, v151 quad_perm:[3,3,3,3] row_mask:0xf bank_mask:0xf// 000000017E20: 0BEF2EFA FF00FFFD
	v_mul_f32_dpp v248, v254, v152 quad_perm:[0,0,0,0] row_mask:0xf bank_mask:0xf// 000000017E28: 0BF130FA FF0000FE
	v_mul_f32_dpp v249, v254, v153 quad_perm:[1,1,1,1] row_mask:0xf bank_mask:0xf// 000000017E30: 0BF332FA FF0055FE
	v_mul_f32_dpp v250, v254, v154 quad_perm:[2,2,2,2] row_mask:0xf bank_mask:0xf// 000000017E38: 0BF534FA FF00AAFE
	v_mul_f32_dpp v251, v254, v155 quad_perm:[3,3,3,3] row_mask:0xf bank_mask:0xf// 000000017E40: 0BF736FA FF00FFFE
	v_mul_f32_dpp v252, v255, v156 quad_perm:[0,0,0,0] row_mask:0xf bank_mask:0xf// 000000017E48: 0BF938FA FF0000FF
	v_mul_f32_dpp v253, v255, v157 quad_perm:[1,1,1,1] row_mask:0xf bank_mask:0xf// 000000017E50: 0BFB3AFA FF0055FF
	v_mul_f32_dpp v254, v255, v158 quad_perm:[2,2,2,2] row_mask:0xf bank_mask:0xf// 000000017E58: 0BFD3CFA FF00AAFF
	v_mul_f32_dpp v255, v255, v159 quad_perm:[3,3,3,3] row_mask:0xf bank_mask:0xf// 000000017E60: 0BFF3EFA FF00FFFF
	v_mov_b32_e32 v48, 0x358637bd                              // 000000017E68: 7E6002FF 358637BD
	v_max3_f32 v48, |v240|, |v241|, v48                        // 000000017E70: D1D30330 04C3E3F0
	v_max3_f32 v48, |v242|, |v243|, v48                        // 000000017E78: D1D30330 04C3E7F2
	v_max3_f32 v48, |v244|, |v245|, v48                        // 000000017E80: D1D30330 04C3EBF4
	v_max3_f32 v48, |v246|, |v247|, v48                        // 000000017E88: D1D30330 04C3EFF6
	v_max3_f32 v48, |v248|, |v249|, v48                        // 000000017E90: D1D30330 04C3F3F8
	v_max3_f32 v48, |v250|, |v251|, v48                        // 000000017E98: D1D30330 04C3F7FA
	v_max3_f32 v48, |v252|, |v253|, v48                        // 000000017EA0: D1D30330 04C3FBFC
	v_max3_f32 v48, |v254|, |v255|, v48                        // 000000017EA8: D1D30330 04C3FFFE
	ds_write_b32 v8, v48 offset:20992                          // 000000017EB0: D81A5200 00003008
	v_sub_f32_e32 v51, v13, v15                                // 000000017EB8: 04661F0D
	v_cndmask_b32_e64 v51, v51, 0, s[40:41]                    // 000000017EBC: D1000033 00A10133
	v_mov_b32_e32 v13, v15                                     // 000000017EC4: 7E1A030F
	v_mul_f32_e32 v51, s64, v51                                // 000000017EC8: 0A666640
	v_exp_f32_e32 v51, v51                                     // 000000017ECC: 7E664133
	s_waitcnt lgkmcnt(0)                                       // 000000017ED0: BF8CC07F
	s_barrier                                                  // 000000017ED4: BF8A0000
	ds_read_b32 v64, v7 offset:20992                           // 000000017ED8: D86C5200 40000007
	ds_read_b32 v65, v7 offset:21056                           // 000000017EE0: D86C5240 41000007
	ds_read_b32 v66, v7 offset:21120                           // 000000017EE8: D86C5280 42000007
	ds_read_b32 v67, v7 offset:21184                           // 000000017EF0: D86C52C0 43000007
	ds_read_b32 v68, v7 offset:21248                           // 000000017EF8: D86C5300 44000007
	ds_read_b32 v69, v7 offset:21312                           // 000000017F00: D86C5340 45000007
	ds_read_b32 v70, v7 offset:21376                           // 000000017F08: D86C5380 46000007
	ds_read_b32 v71, v7 offset:21440                           // 000000017F10: D86C53C0 47000007
	ds_read_b32 v72, v7 offset:21504                           // 000000017F18: D86C5400 48000007
	ds_read_b32 v73, v7 offset:21568                           // 000000017F20: D86C5440 49000007
	ds_read_b32 v74, v7 offset:21632                           // 000000017F28: D86C5480 4A000007
	ds_read_b32 v75, v7 offset:21696                           // 000000017F30: D86C54C0 4B000007
	ds_read_b32 v76, v7 offset:21760                           // 000000017F38: D86C5500 4C000007
	ds_read_b32 v77, v7 offset:21824                           // 000000017F40: D86C5540 4D000007
	ds_read_b32 v78, v7 offset:21888                           // 000000017F48: D86C5580 4E000007
	ds_read_b32 v79, v7 offset:21952                           // 000000017F50: D86C55C0 4F000007
	v_mul_f32_e32 v40, v51, v40                                // 000000017F58: 0A505133
	v_mov_b32_e32 v15, v144                                    // 000000017F5C: 7E1E0390
	v_add_f32_e32 v15, v145, v15                               // 000000017F60: 021E1F91
	v_add_f32_e32 v15, v146, v15                               // 000000017F64: 021E1F92
	v_add_f32_e32 v15, v147, v15                               // 000000017F68: 021E1F93
	v_add_f32_e32 v15, v148, v15                               // 000000017F6C: 021E1F94
	v_add_f32_e32 v15, v149, v15                               // 000000017F70: 021E1F95
	v_add_f32_e32 v15, v150, v15                               // 000000017F74: 021E1F96
	v_add_f32_e32 v15, v151, v15                               // 000000017F78: 021E1F97
	v_add_f32_e32 v15, v152, v15                               // 000000017F7C: 021E1F98
	v_add_f32_e32 v15, v153, v15                               // 000000017F80: 021E1F99
	v_add_f32_e32 v15, v154, v15                               // 000000017F84: 021E1F9A
	v_add_f32_e32 v15, v155, v15                               // 000000017F88: 021E1F9B
	v_add_f32_e32 v15, v156, v15                               // 000000017F8C: 021E1F9C
	v_add_f32_e32 v15, v157, v15                               // 000000017F90: 021E1F9D
	v_add_f32_e32 v15, v158, v15                               // 000000017F94: 021E1F9E
	v_add_f32_e32 v15, v159, v15                               // 000000017F98: 021E1F9F
	v_add_f32_e32 v40, v15, v40                                // 000000017F9C: 0250510F
	s_waitcnt lgkmcnt(0)                                       // 000000017FA0: BF8CC07F
	v_max3_f32 v48, |v64|, |v65|, v48                          // 000000017FA4: D1D30330 04C28340
	v_max3_f32 v48, |v66|, |v67|, v48                          // 000000017FAC: D1D30330 04C28742
	v_max3_f32 v48, |v68|, |v69|, v48                          // 000000017FB4: D1D30330 04C28B44
	v_max3_f32 v48, |v70|, |v71|, v48                          // 000000017FBC: D1D30330 04C28F46
	v_max3_f32 v48, |v72|, |v73|, v48                          // 000000017FC4: D1D30330 04C29348
	v_max3_f32 v48, |v74|, |v75|, v48                          // 000000017FCC: D1D30330 04C2974A
	v_max3_f32 v48, |v76|, |v77|, v48                          // 000000017FD4: D1D30330 04C29B4C
	v_max3_f32 v48, |v78|, |v79|, v48                          // 000000017FDC: D1D30330 04C29F4E
	s_nop 2                                                    // 000000017FE4: BF800002
	v_rcp_f32_e32 v48, v48                                     // 000000017FE8: 7E604530
	s_nop 1                                                    // 000000017FEC: BF800001
	v_mul_f32_e32 v48, 0x43700000, v48                         // 000000017FF0: 0A6060FF 43700000
	v_mul_f32_e32 v144, v48, v240                              // 000000017FF8: 0B21E130
	v_mul_f32_e32 v145, v48, v241                              // 000000017FFC: 0B23E330
	v_mul_f32_e32 v146, v48, v242                              // 000000018000: 0B25E530
	v_mul_f32_e32 v147, v48, v243                              // 000000018004: 0B27E730
	v_mul_f32_e32 v148, v48, v244                              // 000000018008: 0B29E930
	v_mul_f32_e32 v149, v48, v245                              // 00000001800C: 0B2BEB30
	v_mul_f32_e32 v150, v48, v246                              // 000000018010: 0B2DED30
	v_mul_f32_e32 v151, v48, v247                              // 000000018014: 0B2FEF30
	v_mul_f32_e32 v152, v48, v248                              // 000000018018: 0B31F130
	v_mul_f32_e32 v153, v48, v249                              // 00000001801C: 0B33F330
	v_mul_f32_e32 v154, v48, v250                              // 000000018020: 0B35F530
	v_mul_f32_e32 v155, v48, v251                              // 000000018024: 0B37F730
	v_mul_f32_e32 v156, v48, v252                              // 000000018028: 0B39F930
	v_mul_f32_e32 v157, v48, v253                              // 00000001802C: 0B3BFB30
	v_mul_f32_e32 v158, v48, v254                              // 000000018030: 0B3DFD30
	v_mul_f32_e32 v159, v48, v255                              // 000000018034: 0B3FFF30
	v_cvt_pk_fp8_f32 v144, v144, v145                          // 000000018038: D2A20090 00032390
	v_cvt_pk_fp8_f32 v144, v146, v147 op_sel:[0,0,1]           // 000000018040: D2A24090 00032792
	v_cvt_pk_fp8_f32 v145, v148, v149                          // 000000018048: D2A20091 00032B94
	v_cvt_pk_fp8_f32 v145, v150, v151 op_sel:[0,0,1]           // 000000018050: D2A24091 00032F96
	v_cvt_pk_fp8_f32 v146, v152, v153                          // 000000018058: D2A20092 00033398
	v_cvt_pk_fp8_f32 v146, v154, v155 op_sel:[0,0,1]           // 000000018060: D2A24092 0003379A
	v_cvt_pk_fp8_f32 v147, v156, v157                          // 000000018068: D2A20093 00033B9C
	v_cvt_pk_fp8_f32 v147, v158, v159 op_sel:[0,0,1]           // 000000018070: D2A24093 00033F9E
	ds_write_b32 v10, v144 offset:33280                        // 000000018078: D81A8200 0000900A
	ds_write_b32 v10, v145 offset:34304                        // 000000018080: D81A8600 0000910A
	ds_write_b32 v10, v146 offset:35328                        // 000000018088: D81A8A00 0000920A
	ds_write_b32 v10, v147 offset:36352                        // 000000018090: D81A8E00 0000930A
	v_add_f32_e32 v224, v224, v192                             // 000000018098: 03C181E0
	v_add_f32_e32 v225, v225, v193                             // 00000001809C: 03C383E1
	v_add_f32_e32 v226, v226, v194                             // 0000000180A0: 03C585E2
	v_add_f32_e32 v227, v227, v195                             // 0000000180A4: 03C787E3
	v_add_f32_e32 v228, v228, v196                             // 0000000180A8: 03C989E4
	v_add_f32_e32 v229, v229, v197                             // 0000000180AC: 03CB8BE5
	v_add_f32_e32 v230, v230, v198                             // 0000000180B0: 03CD8DE6
	v_add_f32_e32 v231, v231, v199                             // 0000000180B4: 03CF8FE7
	v_rcp_f32_e32 v46, v48                                     // 0000000180B8: 7E5C4530
	s_waitcnt lgkmcnt(0)                                       // 0000000180BC: BF8CC07F
	s_barrier                                                  // 0000000180C0: BF8A0000
	ds_read_b64 v[144:145], v9 offset:33280                    // 0000000180C4: D8EC8200 90000009
	ds_read_b64 v[146:147], v9 offset:33408                    // 0000000180CC: D8EC8280 92000009
	ds_read_b64 v[148:149], v9 offset:34304                    // 0000000180D4: D8EC8600 94000009
	ds_read_b64 v[150:151], v9 offset:34432                    // 0000000180DC: D8EC8680 96000009
	ds_read_b64 v[152:153], v9 offset:35328                    // 0000000180E4: D8EC8A00 98000009
	ds_read_b64 v[154:155], v9 offset:35456                    // 0000000180EC: D8EC8A80 9A000009
	ds_read_b64 v[156:157], v9 offset:36352                    // 0000000180F4: D8EC8E00 9C000009
	ds_read_b64 v[158:159], v9 offset:36480                    // 0000000180FC: D8EC8E80 9E000009
	s_waitcnt vmcnt(15)                                        // 000000018104: BF8C0F7F
	v_mfma_f32_16x16x32_fp8_fp8 v[176:179], a[96:97], v[112:113], 0// 000000018108: D3F300B0 0A02E160
	buffer_load_dwordx4 a[80:83], v30, s[20:23], 0 offen offset:1024// 000000018110: E05C1400 8085501E
	v_mfma_f32_16x16x32_fp8_fp8 v[176:179], a[98:99], v[114:115], v[176:179]// 000000018118: D3F300B0 0EC2E562
	v_mfma_f32_16x16x32_fp8_fp8 v[176:179], a[100:101], v[116:117], v[176:179]// 000000018120: D3F300B0 0EC2E964
	v_mfma_f32_16x16x32_fp8_fp8 v[176:179], a[102:103], v[118:119], v[176:179]// 000000018128: D3F300B0 0EC2ED66
	v_mfma_f32_16x16x32_fp8_fp8 v[176:179], a[104:105], v[120:121], v[176:179]// 000000018130: D3F300B0 0EC2F168
	buffer_load_dwordx4 a[84:87], v31, s[20:23], 0 offen offset:1024// 000000018138: E05C1400 8085541F
	v_mfma_f32_16x16x32_fp8_fp8 v[176:179], a[106:107], v[122:123], v[176:179]// 000000018140: D3F300B0 0EC2F56A
	v_mfma_f32_16x16x32_fp8_fp8 v[176:179], a[108:109], v[124:125], v[176:179]// 000000018148: D3F300B0 0EC2F96C
	v_mfma_f32_16x16x32_fp8_fp8 v[176:179], a[110:111], v[126:127], v[176:179]// 000000018150: D3F300B0 0EC2FD6E
	v_mfma_f32_16x16x32_fp8_fp8 v[180:183], a[112:113], v[112:113], 0// 000000018158: D3F300B4 0A02E170
	buffer_load_dwordx4 a[88:91], v32, s[20:23], 0 offen offset:1024// 000000018160: E05C1400 80855820
	v_mfma_f32_16x16x32_fp8_fp8 v[180:183], a[114:115], v[114:115], v[180:183]// 000000018168: D3F300B4 0ED2E572
	v_mfma_f32_16x16x32_fp8_fp8 v[180:183], a[116:117], v[116:117], v[180:183]// 000000018170: D3F300B4 0ED2E974
	v_mfma_f32_16x16x32_fp8_fp8 v[180:183], a[118:119], v[118:119], v[180:183]// 000000018178: D3F300B4 0ED2ED76
	v_mfma_f32_16x16x32_fp8_fp8 v[180:183], a[120:121], v[120:121], v[180:183]// 000000018180: D3F300B4 0ED2F178
	buffer_load_dwordx4 a[92:95], v33, s[20:23], 0 offen offset:1024// 000000018188: E05C1400 80855C21
	v_mfma_f32_16x16x32_fp8_fp8 v[180:183], a[122:123], v[122:123], v[180:183]// 000000018190: D3F300B4 0ED2F57A
	v_mfma_f32_16x16x32_fp8_fp8 v[180:183], a[124:125], v[124:125], v[180:183]// 000000018198: D3F300B4 0ED2F97C
	s_lshr_b32 s57, s70, 4                                     // 0000000181A0: 8F398446
	s_add_u32 s57, 48, s57                                     // 0000000181A4: 803939B0
	v_mfma_f32_16x16x32_fp8_fp8 v[180:183], a[126:127], v[126:127], v[180:183]// 0000000181A8: D3F300B4 0ED2FD7E
	s_cmp_ge_u32 s57, s73                                      // 0000000181B0: BF094939
	s_cselect_b32 s56, 0, s56                                  // 0000000181B4: 85383880
	v_mfma_f32_16x16x32_fp8_fp8 v[184:187], a[96:97], v[128:129], 0// 0000000181B8: D3F300B8 0A030160
	v_mfma_f32_16x16x32_fp8_fp8 v[184:187], a[98:99], v[130:131], v[184:187]// 0000000181C0: D3F300B8 0EE30562
	v_mfma_f32_16x16x32_fp8_fp8 v[184:187], a[100:101], v[132:133], v[184:187]// 0000000181C8: D3F300B8 0EE30964
	v_mfma_f32_16x16x32_fp8_fp8 v[184:187], a[102:103], v[134:135], v[184:187]// 0000000181D0: D3F300B8 0EE30D66
	v_mfma_f32_16x16x32_fp8_fp8 v[184:187], a[104:105], v[136:137], v[184:187]// 0000000181D8: D3F300B8 0EE31168
	v_mfma_f32_16x16x32_fp8_fp8 v[184:187], a[106:107], v[138:139], v[184:187]// 0000000181E0: D3F300B8 0EE3156A
	v_mfma_f32_16x16x32_fp8_fp8 v[184:187], a[108:109], v[140:141], v[184:187]// 0000000181E8: D3F300B8 0EE3196C
	v_mfma_f32_16x16x32_fp8_fp8 v[184:187], a[110:111], v[142:143], v[184:187]// 0000000181F0: D3F300B8 0EE31D6E
	v_mfma_f32_16x16x32_fp8_fp8 v[188:191], a[112:113], v[128:129], 0// 0000000181F8: D3F300BC 0A030170
	v_mfma_f32_16x16x32_fp8_fp8 v[188:191], a[114:115], v[130:131], v[188:191]// 000000018200: D3F300BC 0EF30572
	v_mfma_f32_16x16x32_fp8_fp8 v[188:191], a[116:117], v[132:133], v[188:191]// 000000018208: D3F300BC 0EF30974
	v_mfma_f32_16x16x32_fp8_fp8 v[188:191], a[118:119], v[134:135], v[188:191]// 000000018210: D3F300BC 0EF30D76
	v_mfma_f32_16x16x32_fp8_fp8 v[188:191], a[120:121], v[136:137], v[188:191]// 000000018218: D3F300BC 0EF31178
	v_mfma_f32_16x16x32_fp8_fp8 v[188:191], a[122:123], v[138:139], v[188:191]// 000000018220: D3F300BC 0EF3157A
	v_mfma_f32_16x16x32_fp8_fp8 v[188:191], a[124:125], v[140:141], v[188:191]// 000000018228: D3F300BC 0EF3197C
	v_mfma_f32_16x16x32_fp8_fp8 v[188:191], a[126:127], v[142:143], v[188:191]// 000000018230: D3F300BC 0EF31D7E
	v_mfma_f32_16x16x32_fp8_fp8 v[192:195], a[96:97], v[144:145], 0// 000000018238: D3F300C0 0A032160
	v_mfma_f32_16x16x32_fp8_fp8 v[192:195], a[98:99], v[146:147], v[192:195]// 000000018240: D3F300C0 0F032562
	v_mfma_f32_16x16x32_fp8_fp8 v[192:195], a[100:101], v[148:149], v[192:195]// 000000018248: D3F300C0 0F032964
	v_mfma_f32_16x16x32_fp8_fp8 v[192:195], a[102:103], v[150:151], v[192:195]// 000000018250: D3F300C0 0F032D66
	v_mfma_f32_16x16x32_fp8_fp8 v[192:195], a[104:105], v[152:153], v[192:195]// 000000018258: D3F300C0 0F033168
	v_mfma_f32_16x16x32_fp8_fp8 v[192:195], a[106:107], v[154:155], v[192:195]// 000000018260: D3F300C0 0F03356A
	v_mfma_f32_16x16x32_fp8_fp8 v[192:195], a[108:109], v[156:157], v[192:195]// 000000018268: D3F300C0 0F03396C
	v_mfma_f32_16x16x32_fp8_fp8 v[192:195], a[110:111], v[158:159], v[192:195]// 000000018270: D3F300C0 0F033D6E
	v_mfma_f32_16x16x32_fp8_fp8 v[196:199], a[112:113], v[144:145], 0// 000000018278: D3F300C4 0A032170
	v_mfma_f32_16x16x32_fp8_fp8 v[196:199], a[114:115], v[146:147], v[196:199]// 000000018280: D3F300C4 0F132572
	v_mfma_f32_16x16x32_fp8_fp8 v[196:199], a[116:117], v[148:149], v[196:199]// 000000018288: D3F300C4 0F132974
	v_mfma_f32_16x16x32_fp8_fp8 v[196:199], a[118:119], v[150:151], v[196:199]// 000000018290: D3F300C4 0F132D76
	v_mfma_f32_16x16x32_fp8_fp8 v[196:199], a[120:121], v[152:153], v[196:199]// 000000018298: D3F300C4 0F133178
	v_mfma_f32_16x16x32_fp8_fp8 v[196:199], a[122:123], v[154:155], v[196:199]// 0000000182A0: D3F300C4 0F13357A
	v_mfma_f32_16x16x32_fp8_fp8 v[196:199], a[124:125], v[156:157], v[196:199]// 0000000182A8: D3F300C4 0F13397C
	v_mfma_f32_16x16x32_fp8_fp8 v[196:199], a[126:127], v[158:159], v[196:199]// 0000000182B0: D3F300C4 0F133D7E
	v_add_u32_e32 v1, s56, v1                                  // 0000000182B8: 68020238
	s_addk_i32 s70, 0x100                                      // 0000000182BC: B7460100
	s_cmp_lt_i32 s70, s71                                      // 0000000182C0: BF044746
	s_cbranch_scc0 label_490F                                  // 0000000182C4: BF84F0DD
	s_branch label_4912                                        // 0000000182C8: BF82F0DF

00000000000182cc <label_5833>:
	s_lshr_b32 s60, s71, 4                                     // 0000000182CC: 8F3C8447
	s_cmp_eq_i32 s60, s73                                      // 0000000182D0: BF00493C
	s_cbranch_scc1 label_696A                                  // 0000000182D4: BF851134
	s_lshr_b32 s60, s71, 8                                     // 0000000182D8: 8F3C8847
	s_and_b32 s60, s60, 1                                      // 0000000182DC: 863C813C
	s_cmp_eq_i32 s60, 1                                        // 0000000182E0: BF00813C
	s_cbranch_scc1 label_60D2                                  // 0000000182E4: BF850898
	s_waitcnt vmcnt(8) lgkmcnt(0)                              // 0000000182E8: BF8C0078
	s_barrier                                                  // 0000000182EC: BF8A0000
	v_mfma_f32_16x16x32_fp8_fp8 v[112:115], a[0:1], v[80:81], 0// 0000000182F0: D3F30070 0A02A100
	v_mfma_f32_16x16x32_fp8_fp8 v[112:115], a[2:3], v[82:83], v[112:115]// 0000000182F8: D3F30070 0DC2A502
	v_mfma_f32_16x16x32_fp8_fp8 v[112:115], a[4:5], v[84:85], v[112:115]// 000000018300: D3F30070 0DC2A904
	v_mfma_f32_16x16x32_fp8_fp8 v[112:115], a[6:7], v[86:87], v[112:115]// 000000018308: D3F30070 0DC2AD06
	v_mfma_f32_16x16x32_fp8_fp8 v[116:119], a[8:9], v[80:81], 0// 000000018310: D3F30074 0A02A108
	v_mfma_f32_16x16x32_fp8_fp8 v[116:119], a[10:11], v[82:83], v[116:119]// 000000018318: D3F30074 0DD2A50A
	v_mfma_f32_16x16x32_fp8_fp8 v[116:119], a[12:13], v[84:85], v[116:119]// 000000018320: D3F30074 0DD2A90C
	v_mfma_f32_16x16x32_fp8_fp8 v[116:119], a[14:15], v[86:87], v[116:119]// 000000018328: D3F30074 0DD2AD0E
	v_mfma_f32_16x16x32_fp8_fp8 v[120:123], a[16:17], v[80:81], 0// 000000018330: D3F30078 0A02A110
	v_mfma_f32_16x16x32_fp8_fp8 v[120:123], a[18:19], v[82:83], v[120:123]// 000000018338: D3F30078 0DE2A512
	v_mfma_f32_16x16x32_fp8_fp8 v[120:123], a[20:21], v[84:85], v[120:123]// 000000018340: D3F30078 0DE2A914
	v_mfma_f32_16x16x32_fp8_fp8 v[120:123], a[22:23], v[86:87], v[120:123]// 000000018348: D3F30078 0DE2AD16
	v_mfma_f32_16x16x32_fp8_fp8 v[124:127], a[24:25], v[80:81], 0// 000000018350: D3F3007C 0A02A118
	v_mfma_f32_16x16x32_fp8_fp8 v[124:127], a[26:27], v[82:83], v[124:127]// 000000018358: D3F3007C 0DF2A51A
	v_mfma_f32_16x16x32_fp8_fp8 v[124:127], a[28:29], v[84:85], v[124:127]// 000000018360: D3F3007C 0DF2A91C
	v_mfma_f32_16x16x32_fp8_fp8 v[124:127], a[30:31], v[86:87], v[124:127]// 000000018368: D3F3007C 0DF2AD1E
	v_mfma_f32_16x16x32_fp8_fp8 v[128:131], a[0:1], v[88:89], 0// 000000018370: D3F30080 0A02B100
	v_mfma_f32_16x16x32_fp8_fp8 v[128:131], a[2:3], v[90:91], v[128:131]// 000000018378: D3F30080 0E02B502
	v_mfma_f32_16x16x32_fp8_fp8 v[128:131], a[4:5], v[92:93], v[128:131]// 000000018380: D3F30080 0E02B904
	v_mfma_f32_16x16x32_fp8_fp8 v[128:131], a[6:7], v[94:95], v[128:131]// 000000018388: D3F30080 0E02BD06
	v_mfma_f32_16x16x32_fp8_fp8 v[132:135], a[8:9], v[88:89], 0// 000000018390: D3F30084 0A02B108
	v_mfma_f32_16x16x32_fp8_fp8 v[132:135], a[10:11], v[90:91], v[132:135]// 000000018398: D3F30084 0E12B50A
	v_mfma_f32_16x16x32_fp8_fp8 v[132:135], a[12:13], v[92:93], v[132:135]// 0000000183A0: D3F30084 0E12B90C
	v_mfma_f32_16x16x32_fp8_fp8 v[132:135], a[14:15], v[94:95], v[132:135]// 0000000183A8: D3F30084 0E12BD0E
	v_mfma_f32_16x16x32_fp8_fp8 v[136:139], a[16:17], v[88:89], 0// 0000000183B0: D3F30088 0A02B110
	v_mfma_f32_16x16x32_fp8_fp8 v[136:139], a[18:19], v[90:91], v[136:139]// 0000000183B8: D3F30088 0E22B512
	v_mfma_f32_16x16x32_fp8_fp8 v[136:139], a[20:21], v[92:93], v[136:139]// 0000000183C0: D3F30088 0E22B914
	v_mfma_f32_16x16x32_fp8_fp8 v[136:139], a[22:23], v[94:95], v[136:139]// 0000000183C8: D3F30088 0E22BD16
	v_mfma_f32_16x16x32_fp8_fp8 v[140:143], a[24:25], v[88:89], 0// 0000000183D0: D3F3008C 0A02B118
	v_mfma_f32_16x16x32_fp8_fp8 v[140:143], a[26:27], v[90:91], v[140:143]// 0000000183D8: D3F3008C 0E32B51A
	v_mfma_f32_16x16x32_fp8_fp8 v[140:143], a[28:29], v[92:93], v[140:143]// 0000000183E0: D3F3008C 0E32B91C
	v_mfma_f32_16x16x32_fp8_fp8 v[140:143], a[30:31], v[94:95], v[140:143]// 0000000183E8: D3F3008C 0E32BD1E
	v_mfma_f32_16x16x32_fp8_fp8 v[144:147], a[0:1], v[96:97], 0// 0000000183F0: D3F30090 0A02C100
	v_mfma_f32_16x16x32_fp8_fp8 v[144:147], a[2:3], v[98:99], v[144:147]// 0000000183F8: D3F30090 0E42C502
	v_mfma_f32_16x16x32_fp8_fp8 v[144:147], a[4:5], v[100:101], v[144:147]// 000000018400: D3F30090 0E42C904
	v_mfma_f32_16x16x32_fp8_fp8 v[144:147], a[6:7], v[102:103], v[144:147]// 000000018408: D3F30090 0E42CD06
	v_mfma_f32_16x16x32_fp8_fp8 v[148:151], a[8:9], v[96:97], 0// 000000018410: D3F30094 0A02C108
	v_mfma_f32_16x16x32_fp8_fp8 v[148:151], a[10:11], v[98:99], v[148:151]// 000000018418: D3F30094 0E52C50A
	v_mfma_f32_16x16x32_fp8_fp8 v[148:151], a[12:13], v[100:101], v[148:151]// 000000018420: D3F30094 0E52C90C
	v_mfma_f32_16x16x32_fp8_fp8 v[148:151], a[14:15], v[102:103], v[148:151]// 000000018428: D3F30094 0E52CD0E
	v_mfma_f32_16x16x32_fp8_fp8 v[152:155], a[16:17], v[96:97], 0// 000000018430: D3F30098 0A02C110
	v_mfma_f32_16x16x32_fp8_fp8 v[152:155], a[18:19], v[98:99], v[152:155]// 000000018438: D3F30098 0E62C512
	v_mfma_f32_16x16x32_fp8_fp8 v[152:155], a[20:21], v[100:101], v[152:155]// 000000018440: D3F30098 0E62C914
	v_mfma_f32_16x16x32_fp8_fp8 v[152:155], a[22:23], v[102:103], v[152:155]// 000000018448: D3F30098 0E62CD16
	v_mfma_f32_16x16x32_fp8_fp8 v[156:159], a[24:25], v[96:97], 0// 000000018450: D3F3009C 0A02C118
	v_mfma_f32_16x16x32_fp8_fp8 v[156:159], a[26:27], v[98:99], v[156:159]// 000000018458: D3F3009C 0E72C51A
	v_mfma_f32_16x16x32_fp8_fp8 v[156:159], a[28:29], v[100:101], v[156:159]// 000000018460: D3F3009C 0E72C91C
	v_mfma_f32_16x16x32_fp8_fp8 v[156:159], a[30:31], v[102:103], v[156:159]// 000000018468: D3F3009C 0E72CD1E
	v_mov_b32_dpp v64, v42 row_shr:4 row_mask:0xf bank_mask:0xf// 000000018470: 7E8002FA FF01142A
	v_mov_b32_dpp v65, v42 row_shl:4 row_mask:0xf bank_mask:0xf// 000000018478: 7E8202FA FF01042A
	v_cndmask_b32_e64 v248, v42, v64, s[44:45]                 // 000000018480: D10000F8 00B2812A
	v_cndmask_b32_e64 v249, v65, v42, s[44:45]                 // 000000018488: D10000F9 00B25541
	v_mov_b32_dpp v64, v248 row_shr:8 row_mask:0xf bank_mask:0xf// 000000018490: 7E8002FA FF0118F8
	v_mov_b32_dpp v65, v248 row_shl:8 row_mask:0xf bank_mask:0xf// 000000018498: 7E8202FA FF0108F8
	v_mov_b32_dpp v66, v249 row_shr:8 row_mask:0xf bank_mask:0xf// 0000000184A0: 7E8402FA FF0118F9
	v_mov_b32_dpp v67, v249 row_shl:8 row_mask:0xf bank_mask:0xf// 0000000184A8: 7E8602FA FF0108F9
	v_mov_b32_e32 v68, v248                                    // 0000000184B0: 7E8803F8
	v_mov_b32_e32 v69, v249                                    // 0000000184B4: 7E8A03F9
	v_cndmask_b32_e64 v248, v68, v64, s[42:43]                 // 0000000184B8: D10000F8 00AA8144
	v_cndmask_b32_e64 v250, v68, v65, s[78:79]                 // 0000000184C0: D10000FA 013A8344
	v_cndmask_b32_e64 v249, v69, v66, s[42:43]                 // 0000000184C8: D10000F9 00AA8545
	v_cndmask_b32_e64 v251, v69, v67, s[78:79]                 // 0000000184D0: D10000FB 013A8745
	v_mov_b32_dpp v64, v57 row_shr:4 row_mask:0xf bank_mask:0xf// 0000000184D8: 7E8002FA FF011439
	v_mov_b32_dpp v65, v57 row_shl:4 row_mask:0xf bank_mask:0xf// 0000000184E0: 7E8202FA FF010439
	v_cndmask_b32_e64 v252, v57, v64, s[44:45]                 // 0000000184E8: D10000FC 00B28139
	v_cndmask_b32_e64 v253, v65, v57, s[44:45]                 // 0000000184F0: D10000FD 00B27341
	v_mov_b32_dpp v64, v252 row_shr:8 row_mask:0xf bank_mask:0xf// 0000000184F8: 7E8002FA FF0118FC
	v_mov_b32_dpp v65, v252 row_shl:8 row_mask:0xf bank_mask:0xf// 000000018500: 7E8202FA FF0108FC
	v_mov_b32_dpp v66, v253 row_shr:8 row_mask:0xf bank_mask:0xf// 000000018508: 7E8402FA FF0118FD
	v_mov_b32_dpp v67, v253 row_shl:8 row_mask:0xf bank_mask:0xf// 000000018510: 7E8602FA FF0108FD
	v_mov_b32_e32 v68, v252                                    // 000000018518: 7E8803FC
	v_mov_b32_e32 v69, v253                                    // 00000001851C: 7E8A03FD
	v_cndmask_b32_e64 v252, v68, v64, s[42:43]                 // 000000018520: D10000FC 00AA8144
	v_cndmask_b32_e64 v254, v68, v65, s[78:79]                 // 000000018528: D10000FE 013A8344
	v_cndmask_b32_e64 v253, v69, v66, s[42:43]                 // 000000018530: D10000FD 00AA8545
	v_cndmask_b32_e64 v255, v69, v67, s[78:79]                 // 000000018538: D10000FF 013A8745
	v_mul_f32_e32 v112, v18, v112                              // 000000018540: 0AE0E112
	v_mul_f32_e32 v113, v18, v113                              // 000000018544: 0AE2E312
	v_mul_f32_e32 v114, v18, v114                              // 000000018548: 0AE4E512
	v_mul_f32_e32 v115, v18, v115                              // 00000001854C: 0AE6E712
	v_mul_f32_e32 v116, v18, v116                              // 000000018550: 0AE8E912
	v_mul_f32_e32 v117, v18, v117                              // 000000018554: 0AEAEB12
	v_mul_f32_e32 v118, v18, v118                              // 000000018558: 0AECED12
	v_mul_f32_e32 v119, v18, v119                              // 00000001855C: 0AEEEF12
	v_mul_f32_e32 v120, v18, v120                              // 000000018560: 0AF0F112
	v_mul_f32_e32 v121, v18, v121                              // 000000018564: 0AF2F312
	v_mul_f32_e32 v122, v18, v122                              // 000000018568: 0AF4F512
	v_mul_f32_e32 v123, v18, v123                              // 00000001856C: 0AF6F712
	v_mul_f32_e32 v124, v18, v124                              // 000000018570: 0AF8F912
	v_mul_f32_e32 v125, v18, v125                              // 000000018574: 0AFAFB12
	v_mul_f32_e32 v126, v18, v126                              // 000000018578: 0AFCFD12
	v_mul_f32_e32 v127, v18, v127                              // 00000001857C: 0AFEFF12
	v_mul_f32_dpp v112, v248, v112 quad_perm:[0,0,0,0] row_mask:0xf bank_mask:0xf// 000000018580: 0AE0E0FA FF0000F8
	v_mul_f32_dpp v113, v248, v113 quad_perm:[1,1,1,1] row_mask:0xf bank_mask:0xf// 000000018588: 0AE2E2FA FF0055F8
	v_mul_f32_dpp v114, v248, v114 quad_perm:[2,2,2,2] row_mask:0xf bank_mask:0xf// 000000018590: 0AE4E4FA FF00AAF8
	v_mul_f32_dpp v115, v248, v115 quad_perm:[3,3,3,3] row_mask:0xf bank_mask:0xf// 000000018598: 0AE6E6FA FF00FFF8
	v_mul_f32_dpp v116, v249, v116 quad_perm:[0,0,0,0] row_mask:0xf bank_mask:0xf// 0000000185A0: 0AE8E8FA FF0000F9
	v_mul_f32_dpp v117, v249, v117 quad_perm:[1,1,1,1] row_mask:0xf bank_mask:0xf// 0000000185A8: 0AEAEAFA FF0055F9
	v_mul_f32_dpp v118, v249, v118 quad_perm:[2,2,2,2] row_mask:0xf bank_mask:0xf// 0000000185B0: 0AECECFA FF00AAF9
	v_mul_f32_dpp v119, v249, v119 quad_perm:[3,3,3,3] row_mask:0xf bank_mask:0xf// 0000000185B8: 0AEEEEFA FF00FFF9
	v_mul_f32_dpp v120, v250, v120 quad_perm:[0,0,0,0] row_mask:0xf bank_mask:0xf// 0000000185C0: 0AF0F0FA FF0000FA
	v_mul_f32_dpp v121, v250, v121 quad_perm:[1,1,1,1] row_mask:0xf bank_mask:0xf// 0000000185C8: 0AF2F2FA FF0055FA
	v_mul_f32_dpp v122, v250, v122 quad_perm:[2,2,2,2] row_mask:0xf bank_mask:0xf// 0000000185D0: 0AF4F4FA FF00AAFA
	v_mul_f32_dpp v123, v250, v123 quad_perm:[3,3,3,3] row_mask:0xf bank_mask:0xf// 0000000185D8: 0AF6F6FA FF00FFFA
	v_mul_f32_dpp v124, v251, v124 quad_perm:[0,0,0,0] row_mask:0xf bank_mask:0xf// 0000000185E0: 0AF8F8FA FF0000FB
	v_mul_f32_dpp v125, v251, v125 quad_perm:[1,1,1,1] row_mask:0xf bank_mask:0xf// 0000000185E8: 0AFAFAFA FF0055FB
	v_mul_f32_dpp v126, v251, v126 quad_perm:[2,2,2,2] row_mask:0xf bank_mask:0xf// 0000000185F0: 0AFCFCFA FF00AAFB
	v_mul_f32_dpp v127, v251, v127 quad_perm:[3,3,3,3] row_mask:0xf bank_mask:0xf// 0000000185F8: 0AFEFEFA FF00FFFB
	s_cmp_le_i32 s90, s89                                      // 000000018600: BF05595A
	s_cbranch_scc1 label_5973                                  // 000000018604: BF850071
	v_mov_b32_e32 v66, 0xff800000                              // 000000018608: 7E8402FF FF800000
	s_mov_b32 s60, s90                                         // 000000018610: BEBC005A
	s_add_u32 s61, s89, 0xff                                   // 000000018614: 803DFF59 000000FF
	v_mov_b32_e32 v64, s61                                     // 00000001861C: 7E80023D
	v_lshrrev_b32_e32 v240, 4, v0                              // 000000018620: 21E00084
	v_mul_i32_i24_e32 v240, 4, v240                            // 000000018624: 0DE1E084
	v_add_u32_e32 v240, s60, v240                              // 000000018628: 69E1E03C
	s_mov_b32 s61, 0                                           // 00000001862C: BEBD0080
	s_mul_i32 s60, 16, s7                                      // 000000018630: 923C0790
	v_sub_u32_e64 v240, v240, s61                              // 000000018634: D13500F0 00007BF0
	v_add_u32_e32 v240, s60, v240                              // 00000001863C: 69E1E03C
	v_add_u32_e32 v241, 1, v240                                // 000000018640: 69E3E081
	v_add_u32_e32 v242, 2, v240                                // 000000018644: 69E5E082
	v_add_u32_e32 v243, 3, v240                                // 000000018648: 69E7E083
	v_cmp_le_u32_e64 s[40:41], v240, v64                       // 00000001864C: D0CB0028 000281F0
	v_add_u32_e32 v240, 64, v240                               // 000000018654: 69E1E0C0
	s_nop 0                                                    // 000000018658: BF800000
	v_cndmask_b32_e64 v112, v66, v112, s[40:41]                // 00000001865C: D1000070 00A2E142
	v_cmp_le_u32_e64 s[40:41], v241, v64                       // 000000018664: D0CB0028 000281F1
	v_add_u32_e32 v241, 64, v241                               // 00000001866C: 69E3E2C0
	s_nop 0                                                    // 000000018670: BF800000
	v_cndmask_b32_e64 v113, v66, v113, s[40:41]                // 000000018674: D1000071 00A2E342
	v_cmp_le_u32_e64 s[40:41], v242, v64                       // 00000001867C: D0CB0028 000281F2
	v_add_u32_e32 v242, 64, v242                               // 000000018684: 69E5E4C0
	s_nop 0                                                    // 000000018688: BF800000
	v_cndmask_b32_e64 v114, v66, v114, s[40:41]                // 00000001868C: D1000072 00A2E542
	v_cmp_le_u32_e64 s[40:41], v243, v64                       // 000000018694: D0CB0028 000281F3
	v_add_u32_e32 v243, 64, v243                               // 00000001869C: 69E7E6C0
	s_nop 0                                                    // 0000000186A0: BF800000
	v_cndmask_b32_e64 v115, v66, v115, s[40:41]                // 0000000186A4: D1000073 00A2E742
	v_cmp_le_u32_e64 s[40:41], v240, v64                       // 0000000186AC: D0CB0028 000281F0
	v_add_u32_e32 v240, 64, v240                               // 0000000186B4: 69E1E0C0
	s_nop 0                                                    // 0000000186B8: BF800000
	v_cndmask_b32_e64 v116, v66, v116, s[40:41]                // 0000000186BC: D1000074 00A2E942
	v_cmp_le_u32_e64 s[40:41], v241, v64                       // 0000000186C4: D0CB0028 000281F1
	v_add_u32_e32 v241, 64, v241                               // 0000000186CC: 69E3E2C0
	s_nop 0                                                    // 0000000186D0: BF800000
	v_cndmask_b32_e64 v117, v66, v117, s[40:41]                // 0000000186D4: D1000075 00A2EB42
	v_cmp_le_u32_e64 s[40:41], v242, v64                       // 0000000186DC: D0CB0028 000281F2
	v_add_u32_e32 v242, 64, v242                               // 0000000186E4: 69E5E4C0
	s_nop 0                                                    // 0000000186E8: BF800000
	v_cndmask_b32_e64 v118, v66, v118, s[40:41]                // 0000000186EC: D1000076 00A2ED42
	v_cmp_le_u32_e64 s[40:41], v243, v64                       // 0000000186F4: D0CB0028 000281F3
	v_add_u32_e32 v243, 64, v243                               // 0000000186FC: 69E7E6C0
	s_nop 0                                                    // 000000018700: BF800000
	v_cndmask_b32_e64 v119, v66, v119, s[40:41]                // 000000018704: D1000077 00A2EF42
	v_cmp_le_u32_e64 s[40:41], v240, v64                       // 00000001870C: D0CB0028 000281F0
	v_add_u32_e32 v240, 64, v240                               // 000000018714: 69E1E0C0
	s_nop 0                                                    // 000000018718: BF800000
	v_cndmask_b32_e64 v120, v66, v120, s[40:41]                // 00000001871C: D1000078 00A2F142
	v_cmp_le_u32_e64 s[40:41], v241, v64                       // 000000018724: D0CB0028 000281F1
	v_add_u32_e32 v241, 64, v241                               // 00000001872C: 69E3E2C0
	s_nop 0                                                    // 000000018730: BF800000
	v_cndmask_b32_e64 v121, v66, v121, s[40:41]                // 000000018734: D1000079 00A2F342
	v_cmp_le_u32_e64 s[40:41], v242, v64                       // 00000001873C: D0CB0028 000281F2
	v_add_u32_e32 v242, 64, v242                               // 000000018744: 69E5E4C0
	s_nop 0                                                    // 000000018748: BF800000
	v_cndmask_b32_e64 v122, v66, v122, s[40:41]                // 00000001874C: D100007A 00A2F542
	v_cmp_le_u32_e64 s[40:41], v243, v64                       // 000000018754: D0CB0028 000281F3
	v_add_u32_e32 v243, 64, v243                               // 00000001875C: 69E7E6C0
	s_nop 0                                                    // 000000018760: BF800000
	v_cndmask_b32_e64 v123, v66, v123, s[40:41]                // 000000018764: D100007B 00A2F742
	v_cmp_le_u32_e64 s[40:41], v240, v64                       // 00000001876C: D0CB0028 000281F0
	v_add_u32_e32 v240, 64, v240                               // 000000018774: 69E1E0C0
	s_nop 0                                                    // 000000018778: BF800000
	v_cndmask_b32_e64 v124, v66, v124, s[40:41]                // 00000001877C: D100007C 00A2F942
	v_cmp_le_u32_e64 s[40:41], v241, v64                       // 000000018784: D0CB0028 000281F1
	v_add_u32_e32 v241, 64, v241                               // 00000001878C: 69E3E2C0
	s_nop 0                                                    // 000000018790: BF800000
	v_cndmask_b32_e64 v125, v66, v125, s[40:41]                // 000000018794: D100007D 00A2FB42
	v_cmp_le_u32_e64 s[40:41], v242, v64                       // 00000001879C: D0CB0028 000281F2
	v_add_u32_e32 v242, 64, v242                               // 0000000187A4: 69E5E4C0
	s_nop 0                                                    // 0000000187A8: BF800000
	v_cndmask_b32_e64 v126, v66, v126, s[40:41]                // 0000000187AC: D100007E 00A2FD42
	v_cmp_le_u32_e64 s[40:41], v243, v64                       // 0000000187B4: D0CB0028 000281F3
	v_add_u32_e32 v243, 64, v243                               // 0000000187BC: 69E7E6C0
	s_nop 0                                                    // 0000000187C0: BF800000
	v_cndmask_b32_e64 v127, v66, v127, s[40:41]                // 0000000187C4: D100007F 00A2FF42

00000000000187cc <label_5973>:
	s_and_b32 s60, s72, 0xff                                   // 0000000187CC: 863CFF48 000000FF
	v_mov_b32_e32 v65, s60                                     // 0000000187D4: 7E82023C
	v_lshrrev_b32_e32 v240, 4, v0                              // 0000000187D8: 21E00084
	v_mul_i32_i24_e32 v240, 4, v240                            // 0000000187DC: 0DE1E084
	s_mul_i32 s60, s7, 16                                      // 0000000187E0: 923C9007
	v_add_u32_e32 v240, s60, v240                              // 0000000187E4: 69E1E03C
	v_add_u32_e32 v241, 1, v240                                // 0000000187E8: 69E3E081
	v_add_u32_e32 v242, 2, v240                                // 0000000187EC: 69E5E082
	v_add_u32_e32 v243, 3, v240                                // 0000000187F0: 69E7E083
	v_mov_b32_e32 v64, 0xff800000                              // 0000000187F4: 7E8002FF FF800000
	v_cmp_lt_u32_e64 s[40:41], v240, v65                       // 0000000187FC: D0C90028 000283F0
	v_add_u32_e32 v240, 64, v240                               // 000000018804: 69E1E0C0
	s_nop 0                                                    // 000000018808: BF800000
	v_cndmask_b32_e64 v112, v64, v112, s[40:41]                // 00000001880C: D1000070 00A2E140
	v_cmp_lt_u32_e64 s[40:41], v241, v65                       // 000000018814: D0C90028 000283F1
	v_add_u32_e32 v241, 64, v241                               // 00000001881C: 69E3E2C0
	s_nop 0                                                    // 000000018820: BF800000
	v_cndmask_b32_e64 v113, v64, v113, s[40:41]                // 000000018824: D1000071 00A2E340
	v_cmp_lt_u32_e64 s[40:41], v242, v65                       // 00000001882C: D0C90028 000283F2
	v_add_u32_e32 v242, 64, v242                               // 000000018834: 69E5E4C0
	s_nop 0                                                    // 000000018838: BF800000
	v_cndmask_b32_e64 v114, v64, v114, s[40:41]                // 00000001883C: D1000072 00A2E540
	v_cmp_lt_u32_e64 s[40:41], v243, v65                       // 000000018844: D0C90028 000283F3
	v_add_u32_e32 v243, 64, v243                               // 00000001884C: 69E7E6C0
	s_nop 0                                                    // 000000018850: BF800000
	v_cndmask_b32_e64 v115, v64, v115, s[40:41]                // 000000018854: D1000073 00A2E740
	v_cmp_lt_u32_e64 s[40:41], v240, v65                       // 00000001885C: D0C90028 000283F0
	v_add_u32_e32 v240, 64, v240                               // 000000018864: 69E1E0C0
	s_nop 0                                                    // 000000018868: BF800000
	v_cndmask_b32_e64 v116, v64, v116, s[40:41]                // 00000001886C: D1000074 00A2E940
	v_cmp_lt_u32_e64 s[40:41], v241, v65                       // 000000018874: D0C90028 000283F1
	v_add_u32_e32 v241, 64, v241                               // 00000001887C: 69E3E2C0
	s_nop 0                                                    // 000000018880: BF800000
	v_cndmask_b32_e64 v117, v64, v117, s[40:41]                // 000000018884: D1000075 00A2EB40
	v_cmp_lt_u32_e64 s[40:41], v242, v65                       // 00000001888C: D0C90028 000283F2
	v_add_u32_e32 v242, 64, v242                               // 000000018894: 69E5E4C0
	s_nop 0                                                    // 000000018898: BF800000
	v_cndmask_b32_e64 v118, v64, v118, s[40:41]                // 00000001889C: D1000076 00A2ED40
	v_cmp_lt_u32_e64 s[40:41], v243, v65                       // 0000000188A4: D0C90028 000283F3
	v_add_u32_e32 v243, 64, v243                               // 0000000188AC: 69E7E6C0
	s_nop 0                                                    // 0000000188B0: BF800000
	v_cndmask_b32_e64 v119, v64, v119, s[40:41]                // 0000000188B4: D1000077 00A2EF40
	v_cmp_lt_u32_e64 s[40:41], v240, v65                       // 0000000188BC: D0C90028 000283F0
	v_add_u32_e32 v240, 64, v240                               // 0000000188C4: 69E1E0C0
	s_nop 0                                                    // 0000000188C8: BF800000
	v_cndmask_b32_e64 v120, v64, v120, s[40:41]                // 0000000188CC: D1000078 00A2F140
	v_cmp_lt_u32_e64 s[40:41], v241, v65                       // 0000000188D4: D0C90028 000283F1
	v_add_u32_e32 v241, 64, v241                               // 0000000188DC: 69E3E2C0
	s_nop 0                                                    // 0000000188E0: BF800000
	v_cndmask_b32_e64 v121, v64, v121, s[40:41]                // 0000000188E4: D1000079 00A2F340
	v_cmp_lt_u32_e64 s[40:41], v242, v65                       // 0000000188EC: D0C90028 000283F2
	v_add_u32_e32 v242, 64, v242                               // 0000000188F4: 69E5E4C0
	s_nop 0                                                    // 0000000188F8: BF800000
	v_cndmask_b32_e64 v122, v64, v122, s[40:41]                // 0000000188FC: D100007A 00A2F540
	v_cmp_lt_u32_e64 s[40:41], v243, v65                       // 000000018904: D0C90028 000283F3
	v_add_u32_e32 v243, 64, v243                               // 00000001890C: 69E7E6C0
	s_nop 0                                                    // 000000018910: BF800000
	v_cndmask_b32_e64 v123, v64, v123, s[40:41]                // 000000018914: D100007B 00A2F740
	v_cmp_lt_u32_e64 s[40:41], v240, v65                       // 00000001891C: D0C90028 000283F0
	v_add_u32_e32 v240, 64, v240                               // 000000018924: 69E1E0C0
	s_nop 0                                                    // 000000018928: BF800000
	v_cndmask_b32_e64 v124, v64, v124, s[40:41]                // 00000001892C: D100007C 00A2F940
	v_cmp_lt_u32_e64 s[40:41], v241, v65                       // 000000018934: D0C90028 000283F1
	v_add_u32_e32 v241, 64, v241                               // 00000001893C: 69E3E2C0
	s_nop 0                                                    // 000000018940: BF800000
	v_cndmask_b32_e64 v125, v64, v125, s[40:41]                // 000000018944: D100007D 00A2FB40
	v_cmp_lt_u32_e64 s[40:41], v242, v65                       // 00000001894C: D0C90028 000283F2
	v_add_u32_e32 v242, 64, v242                               // 000000018954: 69E5E4C0
	s_nop 0                                                    // 000000018958: BF800000
	v_cndmask_b32_e64 v126, v64, v126, s[40:41]                // 00000001895C: D100007E 00A2FD40
	v_cmp_lt_u32_e64 s[40:41], v243, v65                       // 000000018964: D0C90028 000283F3
	v_add_u32_e32 v243, 64, v243                               // 00000001896C: 69E7E6C0
	s_nop 0                                                    // 000000018970: BF800000
	v_cndmask_b32_e64 v127, v64, v127, s[40:41]                // 000000018974: D100007F 00A2FF40
	v_mov_b32_e32 v48, v112                                    // 00000001897C: 7E600370
	v_max3_f32 v48, v112, v113, v48                            // 000000018980: D1D30030 04C2E370
	v_max3_f32 v48, v114, v115, v48                            // 000000018988: D1D30030 04C2E772
	v_max3_f32 v48, v116, v117, v48                            // 000000018990: D1D30030 04C2EB74
	v_max3_f32 v48, v118, v119, v48                            // 000000018998: D1D30030 04C2EF76
	v_max3_f32 v48, v120, v121, v48                            // 0000000189A0: D1D30030 04C2F378
	v_max3_f32 v48, v122, v123, v48                            // 0000000189A8: D1D30030 04C2F77A
	v_max3_f32 v48, v124, v125, v48                            // 0000000189B0: D1D30030 04C2FB7C
	v_max3_f32 v48, v126, v127, v48                            // 0000000189B8: D1D30030 04C2FF7E
	ds_write_b32 v8, v48 offset:16896                          // 0000000189C0: D81A4200 00003008
	v_mul_u32_u24_dpp v64, v17, v54 row_newbcast:1 row_mask:0xf bank_mask:0xf// 0000000189C8: 10806CFA FF015111
	v_mul_u32_u24_dpp v65, v17, v54 row_newbcast:5 row_mask:0xf bank_mask:0xf// 0000000189D0: 10826CFA FF015511
	v_mul_u32_u24_dpp v66, v17, v54 row_newbcast:9 row_mask:0xf bank_mask:0xf// 0000000189D8: 10846CFA FF015911
	v_mul_u32_u24_dpp v67, v17, v54 row_newbcast:13 row_mask:0xf bank_mask:0xf// 0000000189E0: 10866CFA FF015D11
	v_add_u32_e32 v34, v64, v6                                 // 0000000189E8: 68440D40
	v_add_u32_e32 v35, v65, v6                                 // 0000000189EC: 68460D41
	v_add_u32_e32 v36, v66, v6                                 // 0000000189F0: 68480D42
	v_add_u32_e32 v37, v67, v6                                 // 0000000189F4: 684A0D43
	v_mul_f32_e32 v208, v49, v208                              // 0000000189F8: 0BA1A131
	v_mul_f32_e32 v209, v49, v209                              // 0000000189FC: 0BA3A331
	v_mul_f32_e32 v210, v49, v210                              // 000000018A00: 0BA5A531
	v_mul_f32_e32 v211, v49, v211                              // 000000018A04: 0BA7A731
	v_mul_f32_e32 v212, v49, v212                              // 000000018A08: 0BA9A931
	v_mul_f32_e32 v213, v49, v213                              // 000000018A0C: 0BABAB31
	v_mul_f32_e32 v214, v49, v214                              // 000000018A10: 0BADAD31
	v_mul_f32_e32 v215, v49, v215                              // 000000018A14: 0BAFAF31
	s_waitcnt lgkmcnt(0)                                       // 000000018A18: BF8CC07F
	s_barrier                                                  // 000000018A1C: BF8A0000
	ds_read_b32 v64, v7 offset:16896                           // 000000018A20: D86C4200 40000007
	ds_read_b32 v65, v7 offset:16960                           // 000000018A28: D86C4240 41000007
	ds_read_b32 v66, v7 offset:17024                           // 000000018A30: D86C4280 42000007
	ds_read_b32 v67, v7 offset:17088                           // 000000018A38: D86C42C0 43000007
	ds_read_b32 v68, v7 offset:17152                           // 000000018A40: D86C4300 44000007
	ds_read_b32 v69, v7 offset:17216                           // 000000018A48: D86C4340 45000007
	ds_read_b32 v70, v7 offset:17280                           // 000000018A50: D86C4380 46000007
	ds_read_b32 v71, v7 offset:17344                           // 000000018A58: D86C43C0 47000007
	ds_read_b32 v72, v7 offset:17408                           // 000000018A60: D86C4400 48000007
	ds_read_b32 v73, v7 offset:17472                           // 000000018A68: D86C4440 49000007
	ds_read_b32 v74, v7 offset:17536                           // 000000018A70: D86C4480 4A000007
	ds_read_b32 v75, v7 offset:17600                           // 000000018A78: D86C44C0 4B000007
	ds_read_b32 v76, v7 offset:17664                           // 000000018A80: D86C4500 4C000007
	ds_read_b32 v77, v7 offset:17728                           // 000000018A88: D86C4540 4D000007
	ds_read_b32 v78, v7 offset:17792                           // 000000018A90: D86C4580 4E000007
	ds_read_b32 v79, v7 offset:17856                           // 000000018A98: D86C45C0 4F000007
	v_mul_f32_e32 v176, v44, v176                              // 000000018AA0: 0B61612C
	v_mul_f32_e32 v177, v44, v177                              // 000000018AA4: 0B63632C
	v_mul_f32_e32 v178, v44, v178                              // 000000018AA8: 0B65652C
	v_mul_f32_e32 v179, v44, v179                              // 000000018AAC: 0B67672C
	v_mul_f32_e32 v180, v44, v180                              // 000000018AB0: 0B69692C
	v_mul_f32_e32 v181, v44, v181                              // 000000018AB4: 0B6B6B2C
	v_mul_f32_e32 v182, v44, v182                              // 000000018AB8: 0B6D6D2C
	v_mul_f32_e32 v183, v44, v183                              // 000000018ABC: 0B6F6F2C
	s_waitcnt lgkmcnt(0)                                       // 000000018AC0: BF8CC07F
	v_max3_f32 v48, v64, v65, v48                              // 000000018AC4: D1D30030 04C28340
	v_max3_f32 v48, v66, v67, v48                              // 000000018ACC: D1D30030 04C28742
	v_max3_f32 v48, v68, v69, v48                              // 000000018AD4: D1D30030 04C28B44
	v_max3_f32 v48, v70, v71, v48                              // 000000018ADC: D1D30030 04C28F46
	v_max3_f32 v48, v72, v73, v48                              // 000000018AE4: D1D30030 04C29348
	v_max3_f32 v48, v74, v75, v48                              // 000000018AEC: D1D30030 04C2974A
	v_max3_f32 v48, v76, v77, v48                              // 000000018AF4: D1D30030 04C29B4C
	v_max3_f32 v48, v78, v79, v48                              // 000000018AFC: D1D30030 04C29F4E
	v_mov_b32_e32 v64, 0xff800000                              // 000000018B04: 7E8002FF FF800000
	v_cmp_eq_u32_e64 s[40:41], v64, v11                        // 000000018B0C: D0CA0028 00021740
	s_nop 1                                                    // 000000018B14: BF800001
	v_max_f32_e32 v15, v48, v11                                // 000000018B18: 161E1730
	v_mul_f32_e32 v53, s64, v15                                // 000000018B1C: 0A6A1E40
	v_fma_f32 v112, v112, s64, -v53                            // 000000018B20: D1CB0070 84D48170
	v_fma_f32 v113, v113, s64, -v53                            // 000000018B28: D1CB0071 84D48171
	v_fma_f32 v114, v114, s64, -v53                            // 000000018B30: D1CB0072 84D48172
	v_fma_f32 v115, v115, s64, -v53                            // 000000018B38: D1CB0073 84D48173
	v_fma_f32 v116, v116, s64, -v53                            // 000000018B40: D1CB0074 84D48174
	v_fma_f32 v117, v117, s64, -v53                            // 000000018B48: D1CB0075 84D48175
	v_fma_f32 v118, v118, s64, -v53                            // 000000018B50: D1CB0076 84D48176
	v_fma_f32 v119, v119, s64, -v53                            // 000000018B58: D1CB0077 84D48177
	v_fma_f32 v120, v120, s64, -v53                            // 000000018B60: D1CB0078 84D48178
	v_fma_f32 v121, v121, s64, -v53                            // 000000018B68: D1CB0079 84D48179
	v_fma_f32 v122, v122, s64, -v53                            // 000000018B70: D1CB007A 84D4817A
	v_fma_f32 v123, v123, s64, -v53                            // 000000018B78: D1CB007B 84D4817B
	v_fma_f32 v124, v124, s64, -v53                            // 000000018B80: D1CB007C 84D4817C
	v_fma_f32 v125, v125, s64, -v53                            // 000000018B88: D1CB007D 84D4817D
	v_fma_f32 v126, v126, s64, -v53                            // 000000018B90: D1CB007E 84D4817E
	v_fma_f32 v127, v127, s64, -v53                            // 000000018B98: D1CB007F 84D4817F
	v_exp_f32_e32 v112, v112                                   // 000000018BA0: 7EE04170
	v_exp_f32_e32 v113, v113                                   // 000000018BA4: 7EE24171
	v_exp_f32_e32 v114, v114                                   // 000000018BA8: 7EE44172
	v_exp_f32_e32 v115, v115                                   // 000000018BAC: 7EE64173
	v_exp_f32_e32 v116, v116                                   // 000000018BB0: 7EE84174
	v_exp_f32_e32 v117, v117                                   // 000000018BB4: 7EEA4175
	v_exp_f32_e32 v118, v118                                   // 000000018BB8: 7EEC4176
	v_exp_f32_e32 v119, v119                                   // 000000018BBC: 7EEE4177
	v_exp_f32_e32 v120, v120                                   // 000000018BC0: 7EF04178
	v_exp_f32_e32 v121, v121                                   // 000000018BC4: 7EF24179
	v_exp_f32_e32 v122, v122                                   // 000000018BC8: 7EF4417A
	v_exp_f32_e32 v123, v123                                   // 000000018BCC: 7EF6417B
	v_exp_f32_e32 v124, v124                                   // 000000018BD0: 7EF8417C
	v_exp_f32_e32 v125, v125                                   // 000000018BD4: 7EFA417D
	v_exp_f32_e32 v126, v126                                   // 000000018BD8: 7EFC417E
	v_exp_f32_e32 v127, v127                                   // 000000018BDC: 7EFE417F
	v_mul_f32_dpp v240, v252, v112 quad_perm:[0,0,0,0] row_mask:0xf bank_mask:0xf// 000000018BE0: 0BE0E0FA FF0000FC
	v_mul_f32_dpp v241, v252, v113 quad_perm:[1,1,1,1] row_mask:0xf bank_mask:0xf// 000000018BE8: 0BE2E2FA FF0055FC
	v_mul_f32_dpp v242, v252, v114 quad_perm:[2,2,2,2] row_mask:0xf bank_mask:0xf// 000000018BF0: 0BE4E4FA FF00AAFC
	v_mul_f32_dpp v243, v252, v115 quad_perm:[3,3,3,3] row_mask:0xf bank_mask:0xf// 000000018BF8: 0BE6E6FA FF00FFFC
	v_mul_f32_dpp v244, v253, v116 quad_perm:[0,0,0,0] row_mask:0xf bank_mask:0xf// 000000018C00: 0BE8E8FA FF0000FD
	v_mul_f32_dpp v245, v253, v117 quad_perm:[1,1,1,1] row_mask:0xf bank_mask:0xf// 000000018C08: 0BEAEAFA FF0055FD
	v_mul_f32_dpp v246, v253, v118 quad_perm:[2,2,2,2] row_mask:0xf bank_mask:0xf// 000000018C10: 0BECECFA FF00AAFD
	v_mul_f32_dpp v247, v253, v119 quad_perm:[3,3,3,3] row_mask:0xf bank_mask:0xf// 000000018C18: 0BEEEEFA FF00FFFD
	v_mul_f32_dpp v248, v254, v120 quad_perm:[0,0,0,0] row_mask:0xf bank_mask:0xf// 000000018C20: 0BF0F0FA FF0000FE
	v_mul_f32_dpp v249, v254, v121 quad_perm:[1,1,1,1] row_mask:0xf bank_mask:0xf// 000000018C28: 0BF2F2FA FF0055FE
	v_mul_f32_dpp v250, v254, v122 quad_perm:[2,2,2,2] row_mask:0xf bank_mask:0xf// 000000018C30: 0BF4F4FA FF00AAFE
	v_mul_f32_dpp v251, v254, v123 quad_perm:[3,3,3,3] row_mask:0xf bank_mask:0xf// 000000018C38: 0BF6F6FA FF00FFFE
	v_mul_f32_dpp v252, v255, v124 quad_perm:[0,0,0,0] row_mask:0xf bank_mask:0xf// 000000018C40: 0BF8F8FA FF0000FF
	v_mul_f32_dpp v253, v255, v125 quad_perm:[1,1,1,1] row_mask:0xf bank_mask:0xf// 000000018C48: 0BFAFAFA FF0055FF
	v_mul_f32_dpp v254, v255, v126 quad_perm:[2,2,2,2] row_mask:0xf bank_mask:0xf// 000000018C50: 0BFCFCFA FF00AAFF
	v_mul_f32_dpp v255, v255, v127 quad_perm:[3,3,3,3] row_mask:0xf bank_mask:0xf// 000000018C58: 0BFEFEFA FF00FFFF
	v_mov_b32_e32 v48, 0x358637bd                              // 000000018C60: 7E6002FF 358637BD
	v_max3_f32 v48, |v240|, |v241|, v48                        // 000000018C68: D1D30330 04C3E3F0
	v_max3_f32 v48, |v242|, |v243|, v48                        // 000000018C70: D1D30330 04C3E7F2
	v_max3_f32 v48, |v244|, |v245|, v48                        // 000000018C78: D1D30330 04C3EBF4
	v_max3_f32 v48, |v246|, |v247|, v48                        // 000000018C80: D1D30330 04C3EFF6
	v_max3_f32 v48, |v248|, |v249|, v48                        // 000000018C88: D1D30330 04C3F3F8
	v_max3_f32 v48, |v250|, |v251|, v48                        // 000000018C90: D1D30330 04C3F7FA
	v_max3_f32 v48, |v252|, |v253|, v48                        // 000000018C98: D1D30330 04C3FBFC
	v_max3_f32 v48, |v254|, |v255|, v48                        // 000000018CA0: D1D30330 04C3FFFE
	ds_write_b32 v8, v48 offset:20992                          // 000000018CA8: D81A5200 00003008
	v_sub_f32_e32 v49, v11, v15                                // 000000018CB0: 04621F0B
	v_cndmask_b32_e64 v49, v49, 0, s[40:41]                    // 000000018CB4: D1000031 00A10131
	v_mov_b32_e32 v11, v15                                     // 000000018CBC: 7E16030F
	v_mul_f32_e32 v49, s64, v49                                // 000000018CC0: 0A626240
	v_exp_f32_e32 v49, v49                                     // 000000018CC4: 7E624131
	s_waitcnt lgkmcnt(0)                                       // 000000018CC8: BF8CC07F
	s_barrier                                                  // 000000018CCC: BF8A0000
	ds_read_b32 v64, v7 offset:20992                           // 000000018CD0: D86C5200 40000007
	ds_read_b32 v65, v7 offset:21056                           // 000000018CD8: D86C5240 41000007
	ds_read_b32 v66, v7 offset:21120                           // 000000018CE0: D86C5280 42000007
	ds_read_b32 v67, v7 offset:21184                           // 000000018CE8: D86C52C0 43000007
	ds_read_b32 v68, v7 offset:21248                           // 000000018CF0: D86C5300 44000007
	ds_read_b32 v69, v7 offset:21312                           // 000000018CF8: D86C5340 45000007
	ds_read_b32 v70, v7 offset:21376                           // 000000018D00: D86C5380 46000007
	ds_read_b32 v71, v7 offset:21440                           // 000000018D08: D86C53C0 47000007
	ds_read_b32 v72, v7 offset:21504                           // 000000018D10: D86C5400 48000007
	ds_read_b32 v73, v7 offset:21568                           // 000000018D18: D86C5440 49000007
	ds_read_b32 v74, v7 offset:21632                           // 000000018D20: D86C5480 4A000007
	ds_read_b32 v75, v7 offset:21696                           // 000000018D28: D86C54C0 4B000007
	ds_read_b32 v76, v7 offset:21760                           // 000000018D30: D86C5500 4C000007
	ds_read_b32 v77, v7 offset:21824                           // 000000018D38: D86C5540 4D000007
	ds_read_b32 v78, v7 offset:21888                           // 000000018D40: D86C5580 4E000007
	ds_read_b32 v79, v7 offset:21952                           // 000000018D48: D86C55C0 4F000007
	v_mul_f32_e32 v38, v49, v38                                // 000000018D50: 0A4C4D31
	v_mov_b32_e32 v15, v112                                    // 000000018D54: 7E1E0370
	v_add_f32_e32 v15, v113, v15                               // 000000018D58: 021E1F71
	v_add_f32_e32 v15, v114, v15                               // 000000018D5C: 021E1F72
	v_add_f32_e32 v15, v115, v15                               // 000000018D60: 021E1F73
	v_add_f32_e32 v15, v116, v15                               // 000000018D64: 021E1F74
	v_add_f32_e32 v15, v117, v15                               // 000000018D68: 021E1F75
	v_add_f32_e32 v15, v118, v15                               // 000000018D6C: 021E1F76
	v_add_f32_e32 v15, v119, v15                               // 000000018D70: 021E1F77
	v_add_f32_e32 v15, v120, v15                               // 000000018D74: 021E1F78
	v_add_f32_e32 v15, v121, v15                               // 000000018D78: 021E1F79
	v_add_f32_e32 v15, v122, v15                               // 000000018D7C: 021E1F7A
	v_add_f32_e32 v15, v123, v15                               // 000000018D80: 021E1F7B
	v_add_f32_e32 v15, v124, v15                               // 000000018D84: 021E1F7C
	v_add_f32_e32 v15, v125, v15                               // 000000018D88: 021E1F7D
	v_add_f32_e32 v15, v126, v15                               // 000000018D8C: 021E1F7E
	v_add_f32_e32 v15, v127, v15                               // 000000018D90: 021E1F7F
	v_add_f32_e32 v38, v15, v38                                // 000000018D94: 024C4D0F
	s_waitcnt lgkmcnt(0)                                       // 000000018D98: BF8CC07F
	v_max3_f32 v48, |v64|, |v65|, v48                          // 000000018D9C: D1D30330 04C28340
	v_max3_f32 v48, |v66|, |v67|, v48                          // 000000018DA4: D1D30330 04C28742
	v_max3_f32 v48, |v68|, |v69|, v48                          // 000000018DAC: D1D30330 04C28B44
	v_max3_f32 v48, |v70|, |v71|, v48                          // 000000018DB4: D1D30330 04C28F46
	v_max3_f32 v48, |v72|, |v73|, v48                          // 000000018DBC: D1D30330 04C29348
	v_max3_f32 v48, |v74|, |v75|, v48                          // 000000018DC4: D1D30330 04C2974A
	v_max3_f32 v48, |v76|, |v77|, v48                          // 000000018DCC: D1D30330 04C29B4C
	v_max3_f32 v48, |v78|, |v79|, v48                          // 000000018DD4: D1D30330 04C29F4E
	s_nop 2                                                    // 000000018DDC: BF800002
	v_rcp_f32_e32 v48, v48                                     // 000000018DE0: 7E604530
	s_nop 1                                                    // 000000018DE4: BF800001
	v_mul_f32_e32 v48, 0x43700000, v48                         // 000000018DE8: 0A6060FF 43700000
	v_mul_f32_e32 v112, v48, v240                              // 000000018DF0: 0AE1E130
	v_mul_f32_e32 v113, v48, v241                              // 000000018DF4: 0AE3E330
	v_mul_f32_e32 v114, v48, v242                              // 000000018DF8: 0AE5E530
	v_mul_f32_e32 v115, v48, v243                              // 000000018DFC: 0AE7E730
	v_mul_f32_e32 v116, v48, v244                              // 000000018E00: 0AE9E930
	v_mul_f32_e32 v117, v48, v245                              // 000000018E04: 0AEBEB30
	v_mul_f32_e32 v118, v48, v246                              // 000000018E08: 0AEDED30
	v_mul_f32_e32 v119, v48, v247                              // 000000018E0C: 0AEFEF30
	v_mul_f32_e32 v120, v48, v248                              // 000000018E10: 0AF1F130
	v_mul_f32_e32 v121, v48, v249                              // 000000018E14: 0AF3F330
	v_mul_f32_e32 v122, v48, v250                              // 000000018E18: 0AF5F530
	v_mul_f32_e32 v123, v48, v251                              // 000000018E1C: 0AF7F730
	v_mul_f32_e32 v124, v48, v252                              // 000000018E20: 0AF9F930
	v_mul_f32_e32 v125, v48, v253                              // 000000018E24: 0AFBFB30
	v_mul_f32_e32 v126, v48, v254                              // 000000018E28: 0AFDFD30
	v_mul_f32_e32 v127, v48, v255                              // 000000018E2C: 0AFFFF30
	v_cvt_pk_fp8_f32 v112, v112, v113                          // 000000018E30: D2A20070 0002E370
	v_cvt_pk_fp8_f32 v112, v114, v115 op_sel:[0,0,1]           // 000000018E38: D2A24070 0002E772
	v_cvt_pk_fp8_f32 v113, v116, v117                          // 000000018E40: D2A20071 0002EB74
	v_cvt_pk_fp8_f32 v113, v118, v119 op_sel:[0,0,1]           // 000000018E48: D2A24071 0002EF76
	v_cvt_pk_fp8_f32 v114, v120, v121                          // 000000018E50: D2A20072 0002F378
	v_cvt_pk_fp8_f32 v114, v122, v123 op_sel:[0,0,1]           // 000000018E58: D2A24072 0002F77A
	v_cvt_pk_fp8_f32 v115, v124, v125                          // 000000018E60: D2A20073 0002FB7C
	v_cvt_pk_fp8_f32 v115, v126, v127 op_sel:[0,0,1]           // 000000018E68: D2A24073 0002FF7E
	ds_write_b32 v10, v112 offset:25088                        // 000000018E70: D81A6200 0000700A
	ds_write_b32 v10, v113 offset:26112                        // 000000018E78: D81A6600 0000710A
	ds_write_b32 v10, v114 offset:27136                        // 000000018E80: D81A6A00 0000720A
	ds_write_b32 v10, v115 offset:28160                        // 000000018E88: D81A6E00 0000730A
	v_add_f32_e32 v208, v208, v176                             // 000000018E90: 03A161D0
	v_add_f32_e32 v209, v209, v177                             // 000000018E94: 03A363D1
	v_add_f32_e32 v210, v210, v178                             // 000000018E98: 03A565D2
	v_add_f32_e32 v211, v211, v179                             // 000000018E9C: 03A767D3
	v_add_f32_e32 v212, v212, v180                             // 000000018EA0: 03A969D4
	v_add_f32_e32 v213, v213, v181                             // 000000018EA4: 03AB6BD5
	v_add_f32_e32 v214, v214, v182                             // 000000018EA8: 03AD6DD6
	v_add_f32_e32 v215, v215, v183                             // 000000018EAC: 03AF6FD7
	v_rcp_f32_e32 v44, v48                                     // 000000018EB0: 7E584530
	s_waitcnt lgkmcnt(0)                                       // 000000018EB4: BF8CC07F
	s_barrier                                                  // 000000018EB8: BF8A0000
	ds_read_b64 v[112:113], v9 offset:25088                    // 000000018EBC: D8EC6200 70000009
	ds_read_b64 v[114:115], v9 offset:25216                    // 000000018EC4: D8EC6280 72000009
	ds_read_b64 v[116:117], v9 offset:26112                    // 000000018ECC: D8EC6600 74000009
	ds_read_b64 v[118:119], v9 offset:26240                    // 000000018ED4: D8EC6680 76000009
	ds_read_b64 v[120:121], v9 offset:27136                    // 000000018EDC: D8EC6A00 78000009
	ds_read_b64 v[122:123], v9 offset:27264                    // 000000018EE4: D8EC6A80 7A000009
	ds_read_b64 v[124:125], v9 offset:28160                    // 000000018EEC: D8EC6E00 7C000009
	ds_read_b64 v[126:127], v9 offset:28288                    // 000000018EF4: D8EC6E80 7E000009
	v_mov_b32_dpp v64, v42 row_shr:4 row_mask:0xf bank_mask:0xf// 000000018EFC: 7E8002FA FF01142A
	v_mov_b32_dpp v65, v42 row_shl:4 row_mask:0xf bank_mask:0xf// 000000018F04: 7E8202FA FF01042A
	v_cndmask_b32_e64 v248, v42, v64, s[44:45]                 // 000000018F0C: D10000F8 00B2812A
	v_cndmask_b32_e64 v249, v65, v42, s[44:45]                 // 000000018F14: D10000F9 00B25541
	v_mov_b32_dpp v64, v248 row_shr:8 row_mask:0xf bank_mask:0xf// 000000018F1C: 7E8002FA FF0118F8
	v_mov_b32_dpp v65, v248 row_shl:8 row_mask:0xf bank_mask:0xf// 000000018F24: 7E8202FA FF0108F8
	v_mov_b32_dpp v66, v249 row_shr:8 row_mask:0xf bank_mask:0xf// 000000018F2C: 7E8402FA FF0118F9
	v_mov_b32_dpp v67, v249 row_shl:8 row_mask:0xf bank_mask:0xf// 000000018F34: 7E8602FA FF0108F9
	v_mov_b32_e32 v68, v248                                    // 000000018F3C: 7E8803F8
	v_mov_b32_e32 v69, v249                                    // 000000018F40: 7E8A03F9
	v_cndmask_b32_e64 v248, v68, v64, s[42:43]                 // 000000018F44: D10000F8 00AA8144
	v_cndmask_b32_e64 v250, v68, v65, s[78:79]                 // 000000018F4C: D10000FA 013A8344
	v_cndmask_b32_e64 v249, v69, v66, s[42:43]                 // 000000018F54: D10000F9 00AA8545
	v_cndmask_b32_e64 v251, v69, v67, s[78:79]                 // 000000018F5C: D10000FB 013A8745
	v_mov_b32_dpp v64, v57 row_shr:4 row_mask:0xf bank_mask:0xf// 000000018F64: 7E8002FA FF011439
	v_mov_b32_dpp v65, v57 row_shl:4 row_mask:0xf bank_mask:0xf// 000000018F6C: 7E8202FA FF010439
	v_cndmask_b32_e64 v252, v57, v64, s[44:45]                 // 000000018F74: D10000FC 00B28139
	v_cndmask_b32_e64 v253, v65, v57, s[44:45]                 // 000000018F7C: D10000FD 00B27341
	v_mov_b32_dpp v64, v252 row_shr:8 row_mask:0xf bank_mask:0xf// 000000018F84: 7E8002FA FF0118FC
	v_mov_b32_dpp v65, v252 row_shl:8 row_mask:0xf bank_mask:0xf// 000000018F8C: 7E8202FA FF0108FC
	v_mov_b32_dpp v66, v253 row_shr:8 row_mask:0xf bank_mask:0xf// 000000018F94: 7E8402FA FF0118FD
	v_mov_b32_dpp v67, v253 row_shl:8 row_mask:0xf bank_mask:0xf// 000000018F9C: 7E8602FA FF0108FD
	v_mov_b32_e32 v68, v252                                    // 000000018FA4: 7E8803FC
	v_mov_b32_e32 v69, v253                                    // 000000018FA8: 7E8A03FD
	v_cndmask_b32_e64 v252, v68, v64, s[42:43]                 // 000000018FAC: D10000FC 00AA8144
	v_cndmask_b32_e64 v254, v68, v65, s[78:79]                 // 000000018FB4: D10000FE 013A8344
	v_cndmask_b32_e64 v253, v69, v66, s[42:43]                 // 000000018FBC: D10000FD 00AA8545
	v_cndmask_b32_e64 v255, v69, v67, s[78:79]                 // 000000018FC4: D10000FF 013A8745
	v_mul_f32_e32 v128, v19, v128                              // 000000018FCC: 0B010113
	v_mul_f32_e32 v129, v19, v129                              // 000000018FD0: 0B030313
	v_mul_f32_e32 v130, v19, v130                              // 000000018FD4: 0B050513
	v_mul_f32_e32 v131, v19, v131                              // 000000018FD8: 0B070713
	v_mul_f32_e32 v132, v19, v132                              // 000000018FDC: 0B090913
	v_mul_f32_e32 v133, v19, v133                              // 000000018FE0: 0B0B0B13
	v_mul_f32_e32 v134, v19, v134                              // 000000018FE4: 0B0D0D13
	v_mul_f32_e32 v135, v19, v135                              // 000000018FE8: 0B0F0F13
	v_mul_f32_e32 v136, v19, v136                              // 000000018FEC: 0B111113
	v_mul_f32_e32 v137, v19, v137                              // 000000018FF0: 0B131313
	v_mul_f32_e32 v138, v19, v138                              // 000000018FF4: 0B151513
	v_mul_f32_e32 v139, v19, v139                              // 000000018FF8: 0B171713
	v_mul_f32_e32 v140, v19, v140                              // 000000018FFC: 0B191913
	v_mul_f32_e32 v141, v19, v141                              // 000000019000: 0B1B1B13
	v_mul_f32_e32 v142, v19, v142                              // 000000019004: 0B1D1D13
	v_mul_f32_e32 v143, v19, v143                              // 000000019008: 0B1F1F13
	v_mul_f32_dpp v128, v248, v128 quad_perm:[0,0,0,0] row_mask:0xf bank_mask:0xf// 00000001900C: 0B0100FA FF0000F8
	v_mul_f32_dpp v129, v248, v129 quad_perm:[1,1,1,1] row_mask:0xf bank_mask:0xf// 000000019014: 0B0302FA FF0055F8
	v_mul_f32_dpp v130, v248, v130 quad_perm:[2,2,2,2] row_mask:0xf bank_mask:0xf// 00000001901C: 0B0504FA FF00AAF8
	v_mul_f32_dpp v131, v248, v131 quad_perm:[3,3,3,3] row_mask:0xf bank_mask:0xf// 000000019024: 0B0706FA FF00FFF8
	v_mul_f32_dpp v132, v249, v132 quad_perm:[0,0,0,0] row_mask:0xf bank_mask:0xf// 00000001902C: 0B0908FA FF0000F9
	v_mul_f32_dpp v133, v249, v133 quad_perm:[1,1,1,1] row_mask:0xf bank_mask:0xf// 000000019034: 0B0B0AFA FF0055F9
	v_mul_f32_dpp v134, v249, v134 quad_perm:[2,2,2,2] row_mask:0xf bank_mask:0xf// 00000001903C: 0B0D0CFA FF00AAF9
	v_mul_f32_dpp v135, v249, v135 quad_perm:[3,3,3,3] row_mask:0xf bank_mask:0xf// 000000019044: 0B0F0EFA FF00FFF9
	v_mul_f32_dpp v136, v250, v136 quad_perm:[0,0,0,0] row_mask:0xf bank_mask:0xf// 00000001904C: 0B1110FA FF0000FA
	v_mul_f32_dpp v137, v250, v137 quad_perm:[1,1,1,1] row_mask:0xf bank_mask:0xf// 000000019054: 0B1312FA FF0055FA
	v_mul_f32_dpp v138, v250, v138 quad_perm:[2,2,2,2] row_mask:0xf bank_mask:0xf// 00000001905C: 0B1514FA FF00AAFA
	v_mul_f32_dpp v139, v250, v139 quad_perm:[3,3,3,3] row_mask:0xf bank_mask:0xf// 000000019064: 0B1716FA FF00FFFA
	v_mul_f32_dpp v140, v251, v140 quad_perm:[0,0,0,0] row_mask:0xf bank_mask:0xf// 00000001906C: 0B1918FA FF0000FB
	v_mul_f32_dpp v141, v251, v141 quad_perm:[1,1,1,1] row_mask:0xf bank_mask:0xf// 000000019074: 0B1B1AFA FF0055FB
	v_mul_f32_dpp v142, v251, v142 quad_perm:[2,2,2,2] row_mask:0xf bank_mask:0xf// 00000001907C: 0B1D1CFA FF00AAFB
	v_mul_f32_dpp v143, v251, v143 quad_perm:[3,3,3,3] row_mask:0xf bank_mask:0xf// 000000019084: 0B1F1EFA FF00FFFB
	s_cmp_le_i32 s90, s89                                      // 00000001908C: BF05595A
	s_cbranch_scc1 label_5C16                                  // 000000019090: BF850071
	v_mov_b32_e32 v66, 0xff800000                              // 000000019094: 7E8402FF FF800000
	s_mov_b32 s60, s90                                         // 00000001909C: BEBC005A
	s_add_u32 s61, s89, 0xff                                   // 0000000190A0: 803DFF59 000000FF
	v_mov_b32_e32 v64, s61                                     // 0000000190A8: 7E80023D
	v_lshrrev_b32_e32 v240, 4, v0                              // 0000000190AC: 21E00084
	v_mul_i32_i24_e32 v240, 4, v240                            // 0000000190B0: 0DE1E084
	v_add_u32_e32 v240, s60, v240                              // 0000000190B4: 69E1E03C
	s_mov_b32 s61, 1                                           // 0000000190B8: BEBD0081
	s_mul_i32 s60, 16, s7                                      // 0000000190BC: 923C0790
	v_sub_u32_e64 v240, v240, s61                              // 0000000190C0: D13500F0 00007BF0
	v_add_u32_e32 v240, s60, v240                              // 0000000190C8: 69E1E03C
	v_add_u32_e32 v241, 1, v240                                // 0000000190CC: 69E3E081
	v_add_u32_e32 v242, 2, v240                                // 0000000190D0: 69E5E082
	v_add_u32_e32 v243, 3, v240                                // 0000000190D4: 69E7E083
	v_cmp_le_u32_e64 s[40:41], v240, v64                       // 0000000190D8: D0CB0028 000281F0
	v_add_u32_e32 v240, 64, v240                               // 0000000190E0: 69E1E0C0
	s_nop 0                                                    // 0000000190E4: BF800000
	v_cndmask_b32_e64 v128, v66, v128, s[40:41]                // 0000000190E8: D1000080 00A30142
	v_cmp_le_u32_e64 s[40:41], v241, v64                       // 0000000190F0: D0CB0028 000281F1
	v_add_u32_e32 v241, 64, v241                               // 0000000190F8: 69E3E2C0
	s_nop 0                                                    // 0000000190FC: BF800000
	v_cndmask_b32_e64 v129, v66, v129, s[40:41]                // 000000019100: D1000081 00A30342
	v_cmp_le_u32_e64 s[40:41], v242, v64                       // 000000019108: D0CB0028 000281F2
	v_add_u32_e32 v242, 64, v242                               // 000000019110: 69E5E4C0
	s_nop 0                                                    // 000000019114: BF800000
	v_cndmask_b32_e64 v130, v66, v130, s[40:41]                // 000000019118: D1000082 00A30542
	v_cmp_le_u32_e64 s[40:41], v243, v64                       // 000000019120: D0CB0028 000281F3
	v_add_u32_e32 v243, 64, v243                               // 000000019128: 69E7E6C0
	s_nop 0                                                    // 00000001912C: BF800000
	v_cndmask_b32_e64 v131, v66, v131, s[40:41]                // 000000019130: D1000083 00A30742
	v_cmp_le_u32_e64 s[40:41], v240, v64                       // 000000019138: D0CB0028 000281F0
	v_add_u32_e32 v240, 64, v240                               // 000000019140: 69E1E0C0
	s_nop 0                                                    // 000000019144: BF800000
	v_cndmask_b32_e64 v132, v66, v132, s[40:41]                // 000000019148: D1000084 00A30942
	v_cmp_le_u32_e64 s[40:41], v241, v64                       // 000000019150: D0CB0028 000281F1
	v_add_u32_e32 v241, 64, v241                               // 000000019158: 69E3E2C0
	s_nop 0                                                    // 00000001915C: BF800000
	v_cndmask_b32_e64 v133, v66, v133, s[40:41]                // 000000019160: D1000085 00A30B42
	v_cmp_le_u32_e64 s[40:41], v242, v64                       // 000000019168: D0CB0028 000281F2
	v_add_u32_e32 v242, 64, v242                               // 000000019170: 69E5E4C0
	s_nop 0                                                    // 000000019174: BF800000
	v_cndmask_b32_e64 v134, v66, v134, s[40:41]                // 000000019178: D1000086 00A30D42
	v_cmp_le_u32_e64 s[40:41], v243, v64                       // 000000019180: D0CB0028 000281F3
	v_add_u32_e32 v243, 64, v243                               // 000000019188: 69E7E6C0
	s_nop 0                                                    // 00000001918C: BF800000
	v_cndmask_b32_e64 v135, v66, v135, s[40:41]                // 000000019190: D1000087 00A30F42
	v_cmp_le_u32_e64 s[40:41], v240, v64                       // 000000019198: D0CB0028 000281F0
	v_add_u32_e32 v240, 64, v240                               // 0000000191A0: 69E1E0C0
	s_nop 0                                                    // 0000000191A4: BF800000
	v_cndmask_b32_e64 v136, v66, v136, s[40:41]                // 0000000191A8: D1000088 00A31142
	v_cmp_le_u32_e64 s[40:41], v241, v64                       // 0000000191B0: D0CB0028 000281F1
	v_add_u32_e32 v241, 64, v241                               // 0000000191B8: 69E3E2C0
	s_nop 0                                                    // 0000000191BC: BF800000
	v_cndmask_b32_e64 v137, v66, v137, s[40:41]                // 0000000191C0: D1000089 00A31342
	v_cmp_le_u32_e64 s[40:41], v242, v64                       // 0000000191C8: D0CB0028 000281F2
	v_add_u32_e32 v242, 64, v242                               // 0000000191D0: 69E5E4C0
	s_nop 0                                                    // 0000000191D4: BF800000
	v_cndmask_b32_e64 v138, v66, v138, s[40:41]                // 0000000191D8: D100008A 00A31542
	v_cmp_le_u32_e64 s[40:41], v243, v64                       // 0000000191E0: D0CB0028 000281F3
	v_add_u32_e32 v243, 64, v243                               // 0000000191E8: 69E7E6C0
	s_nop 0                                                    // 0000000191EC: BF800000
	v_cndmask_b32_e64 v139, v66, v139, s[40:41]                // 0000000191F0: D100008B 00A31742
	v_cmp_le_u32_e64 s[40:41], v240, v64                       // 0000000191F8: D0CB0028 000281F0
	v_add_u32_e32 v240, 64, v240                               // 000000019200: 69E1E0C0
	s_nop 0                                                    // 000000019204: BF800000
	v_cndmask_b32_e64 v140, v66, v140, s[40:41]                // 000000019208: D100008C 00A31942
	v_cmp_le_u32_e64 s[40:41], v241, v64                       // 000000019210: D0CB0028 000281F1
	v_add_u32_e32 v241, 64, v241                               // 000000019218: 69E3E2C0
	s_nop 0                                                    // 00000001921C: BF800000
	v_cndmask_b32_e64 v141, v66, v141, s[40:41]                // 000000019220: D100008D 00A31B42
	v_cmp_le_u32_e64 s[40:41], v242, v64                       // 000000019228: D0CB0028 000281F2
	v_add_u32_e32 v242, 64, v242                               // 000000019230: 69E5E4C0
	s_nop 0                                                    // 000000019234: BF800000
	v_cndmask_b32_e64 v142, v66, v142, s[40:41]                // 000000019238: D100008E 00A31D42
	v_cmp_le_u32_e64 s[40:41], v243, v64                       // 000000019240: D0CB0028 000281F3
	v_add_u32_e32 v243, 64, v243                               // 000000019248: 69E7E6C0
	s_nop 0                                                    // 00000001924C: BF800000
	v_cndmask_b32_e64 v143, v66, v143, s[40:41]                // 000000019250: D100008F 00A31F42

0000000000019258 <label_5C16>:
	s_and_b32 s60, s72, 0xff                                   // 000000019258: 863CFF48 000000FF
	v_mov_b32_e32 v65, s60                                     // 000000019260: 7E82023C
	v_lshrrev_b32_e32 v240, 4, v0                              // 000000019264: 21E00084
	v_mul_i32_i24_e32 v240, 4, v240                            // 000000019268: 0DE1E084
	s_mul_i32 s60, s7, 16                                      // 00000001926C: 923C9007
	v_add_u32_e32 v240, s60, v240                              // 000000019270: 69E1E03C
	v_add_u32_e32 v241, 1, v240                                // 000000019274: 69E3E081
	v_add_u32_e32 v242, 2, v240                                // 000000019278: 69E5E082
	v_add_u32_e32 v243, 3, v240                                // 00000001927C: 69E7E083
	v_mov_b32_e32 v64, 0xff800000                              // 000000019280: 7E8002FF FF800000
	v_cmp_lt_u32_e64 s[40:41], v240, v65                       // 000000019288: D0C90028 000283F0
	v_add_u32_e32 v240, 64, v240                               // 000000019290: 69E1E0C0
	s_nop 0                                                    // 000000019294: BF800000
	v_cndmask_b32_e64 v128, v64, v128, s[40:41]                // 000000019298: D1000080 00A30140
	v_cmp_lt_u32_e64 s[40:41], v241, v65                       // 0000000192A0: D0C90028 000283F1
	v_add_u32_e32 v241, 64, v241                               // 0000000192A8: 69E3E2C0
	s_nop 0                                                    // 0000000192AC: BF800000
	v_cndmask_b32_e64 v129, v64, v129, s[40:41]                // 0000000192B0: D1000081 00A30340
	v_cmp_lt_u32_e64 s[40:41], v242, v65                       // 0000000192B8: D0C90028 000283F2
	v_add_u32_e32 v242, 64, v242                               // 0000000192C0: 69E5E4C0
	s_nop 0                                                    // 0000000192C4: BF800000
	v_cndmask_b32_e64 v130, v64, v130, s[40:41]                // 0000000192C8: D1000082 00A30540
	v_cmp_lt_u32_e64 s[40:41], v243, v65                       // 0000000192D0: D0C90028 000283F3
	v_add_u32_e32 v243, 64, v243                               // 0000000192D8: 69E7E6C0
	s_nop 0                                                    // 0000000192DC: BF800000
	v_cndmask_b32_e64 v131, v64, v131, s[40:41]                // 0000000192E0: D1000083 00A30740
	v_cmp_lt_u32_e64 s[40:41], v240, v65                       // 0000000192E8: D0C90028 000283F0
	v_add_u32_e32 v240, 64, v240                               // 0000000192F0: 69E1E0C0
	s_nop 0                                                    // 0000000192F4: BF800000
	v_cndmask_b32_e64 v132, v64, v132, s[40:41]                // 0000000192F8: D1000084 00A30940
	v_cmp_lt_u32_e64 s[40:41], v241, v65                       // 000000019300: D0C90028 000283F1
	v_add_u32_e32 v241, 64, v241                               // 000000019308: 69E3E2C0
	s_nop 0                                                    // 00000001930C: BF800000
	v_cndmask_b32_e64 v133, v64, v133, s[40:41]                // 000000019310: D1000085 00A30B40
	v_cmp_lt_u32_e64 s[40:41], v242, v65                       // 000000019318: D0C90028 000283F2
	v_add_u32_e32 v242, 64, v242                               // 000000019320: 69E5E4C0
	s_nop 0                                                    // 000000019324: BF800000
	v_cndmask_b32_e64 v134, v64, v134, s[40:41]                // 000000019328: D1000086 00A30D40
	v_cmp_lt_u32_e64 s[40:41], v243, v65                       // 000000019330: D0C90028 000283F3
	v_add_u32_e32 v243, 64, v243                               // 000000019338: 69E7E6C0
	s_nop 0                                                    // 00000001933C: BF800000
	v_cndmask_b32_e64 v135, v64, v135, s[40:41]                // 000000019340: D1000087 00A30F40
	v_cmp_lt_u32_e64 s[40:41], v240, v65                       // 000000019348: D0C90028 000283F0
	v_add_u32_e32 v240, 64, v240                               // 000000019350: 69E1E0C0
	s_nop 0                                                    // 000000019354: BF800000
	v_cndmask_b32_e64 v136, v64, v136, s[40:41]                // 000000019358: D1000088 00A31140
	v_cmp_lt_u32_e64 s[40:41], v241, v65                       // 000000019360: D0C90028 000283F1
	v_add_u32_e32 v241, 64, v241                               // 000000019368: 69E3E2C0
	s_nop 0                                                    // 00000001936C: BF800000
	v_cndmask_b32_e64 v137, v64, v137, s[40:41]                // 000000019370: D1000089 00A31340
	v_cmp_lt_u32_e64 s[40:41], v242, v65                       // 000000019378: D0C90028 000283F2
	v_add_u32_e32 v242, 64, v242                               // 000000019380: 69E5E4C0
	s_nop 0                                                    // 000000019384: BF800000
	v_cndmask_b32_e64 v138, v64, v138, s[40:41]                // 000000019388: D100008A 00A31540
	v_cmp_lt_u32_e64 s[40:41], v243, v65                       // 000000019390: D0C90028 000283F3
	v_add_u32_e32 v243, 64, v243                               // 000000019398: 69E7E6C0
	s_nop 0                                                    // 00000001939C: BF800000
	v_cndmask_b32_e64 v139, v64, v139, s[40:41]                // 0000000193A0: D100008B 00A31740
	v_cmp_lt_u32_e64 s[40:41], v240, v65                       // 0000000193A8: D0C90028 000283F0
	v_add_u32_e32 v240, 64, v240                               // 0000000193B0: 69E1E0C0
	s_nop 0                                                    // 0000000193B4: BF800000
	v_cndmask_b32_e64 v140, v64, v140, s[40:41]                // 0000000193B8: D100008C 00A31940
	v_cmp_lt_u32_e64 s[40:41], v241, v65                       // 0000000193C0: D0C90028 000283F1
	v_add_u32_e32 v241, 64, v241                               // 0000000193C8: 69E3E2C0
	s_nop 0                                                    // 0000000193CC: BF800000
	v_cndmask_b32_e64 v141, v64, v141, s[40:41]                // 0000000193D0: D100008D 00A31B40
	v_cmp_lt_u32_e64 s[40:41], v242, v65                       // 0000000193D8: D0C90028 000283F2
	v_add_u32_e32 v242, 64, v242                               // 0000000193E0: 69E5E4C0
	s_nop 0                                                    // 0000000193E4: BF800000
	v_cndmask_b32_e64 v142, v64, v142, s[40:41]                // 0000000193E8: D100008E 00A31D40
	v_cmp_lt_u32_e64 s[40:41], v243, v65                       // 0000000193F0: D0C90028 000283F3
	v_add_u32_e32 v243, 64, v243                               // 0000000193F8: 69E7E6C0
	s_nop 0                                                    // 0000000193FC: BF800000
	v_cndmask_b32_e64 v143, v64, v143, s[40:41]                // 000000019400: D100008F 00A31F40
	v_mov_b32_e32 v48, v128                                    // 000000019408: 7E600380
	v_max3_f32 v48, v128, v129, v48                            // 00000001940C: D1D30030 04C30380
	v_max3_f32 v48, v130, v131, v48                            // 000000019414: D1D30030 04C30782
	v_max3_f32 v48, v132, v133, v48                            // 00000001941C: D1D30030 04C30B84
	v_max3_f32 v48, v134, v135, v48                            // 000000019424: D1D30030 04C30F86
	v_max3_f32 v48, v136, v137, v48                            // 00000001942C: D1D30030 04C31388
	v_max3_f32 v48, v138, v139, v48                            // 000000019434: D1D30030 04C3178A
	v_max3_f32 v48, v140, v141, v48                            // 00000001943C: D1D30030 04C31B8C
	v_max3_f32 v48, v142, v143, v48                            // 000000019444: D1D30030 04C31F8E
	ds_write_b32 v8, v48 offset:16896                          // 00000001944C: D81A4200 00003008
	v_mul_f32_e32 v216, v50, v216                              // 000000019454: 0BB1B132
	v_mul_f32_e32 v217, v50, v217                              // 000000019458: 0BB3B332
	v_mul_f32_e32 v218, v50, v218                              // 00000001945C: 0BB5B532
	v_mul_f32_e32 v219, v50, v219                              // 000000019460: 0BB7B732
	v_mul_f32_e32 v220, v50, v220                              // 000000019464: 0BB9B932
	v_mul_f32_e32 v221, v50, v221                              // 000000019468: 0BBBBB32
	v_mul_f32_e32 v222, v50, v222                              // 00000001946C: 0BBDBD32
	v_mul_f32_e32 v223, v50, v223                              // 000000019470: 0BBFBF32
	s_waitcnt lgkmcnt(0)                                       // 000000019474: BF8CC07F
	s_barrier                                                  // 000000019478: BF8A0000
	ds_read_b32 v64, v7 offset:16896                           // 00000001947C: D86C4200 40000007
	ds_read_b32 v65, v7 offset:16960                           // 000000019484: D86C4240 41000007
	ds_read_b32 v66, v7 offset:17024                           // 00000001948C: D86C4280 42000007
	ds_read_b32 v67, v7 offset:17088                           // 000000019494: D86C42C0 43000007
	ds_read_b32 v68, v7 offset:17152                           // 00000001949C: D86C4300 44000007
	ds_read_b32 v69, v7 offset:17216                           // 0000000194A4: D86C4340 45000007
	ds_read_b32 v70, v7 offset:17280                           // 0000000194AC: D86C4380 46000007
	ds_read_b32 v71, v7 offset:17344                           // 0000000194B4: D86C43C0 47000007
	ds_read_b32 v72, v7 offset:17408                           // 0000000194BC: D86C4400 48000007
	ds_read_b32 v73, v7 offset:17472                           // 0000000194C4: D86C4440 49000007
	ds_read_b32 v74, v7 offset:17536                           // 0000000194CC: D86C4480 4A000007
	ds_read_b32 v75, v7 offset:17600                           // 0000000194D4: D86C44C0 4B000007
	ds_read_b32 v76, v7 offset:17664                           // 0000000194DC: D86C4500 4C000007
	ds_read_b32 v77, v7 offset:17728                           // 0000000194E4: D86C4540 4D000007
	ds_read_b32 v78, v7 offset:17792                           // 0000000194EC: D86C4580 4E000007
	ds_read_b32 v79, v7 offset:17856                           // 0000000194F4: D86C45C0 4F000007
	v_mul_f32_e32 v184, v45, v184                              // 0000000194FC: 0B71712D
	v_mul_f32_e32 v185, v45, v185                              // 000000019500: 0B73732D
	v_mul_f32_e32 v186, v45, v186                              // 000000019504: 0B75752D
	v_mul_f32_e32 v187, v45, v187                              // 000000019508: 0B77772D
	v_mul_f32_e32 v188, v45, v188                              // 00000001950C: 0B79792D
	v_mul_f32_e32 v189, v45, v189                              // 000000019510: 0B7B7B2D
	v_mul_f32_e32 v190, v45, v190                              // 000000019514: 0B7D7D2D
	v_mul_f32_e32 v191, v45, v191                              // 000000019518: 0B7F7F2D
	s_waitcnt lgkmcnt(0)                                       // 00000001951C: BF8CC07F
	v_max3_f32 v48, v64, v65, v48                              // 000000019520: D1D30030 04C28340
	v_max3_f32 v48, v66, v67, v48                              // 000000019528: D1D30030 04C28742
	v_max3_f32 v48, v68, v69, v48                              // 000000019530: D1D30030 04C28B44
	v_max3_f32 v48, v70, v71, v48                              // 000000019538: D1D30030 04C28F46
	v_max3_f32 v48, v72, v73, v48                              // 000000019540: D1D30030 04C29348
	v_max3_f32 v48, v74, v75, v48                              // 000000019548: D1D30030 04C2974A
	v_max3_f32 v48, v76, v77, v48                              // 000000019550: D1D30030 04C29B4C
	v_max3_f32 v48, v78, v79, v48                              // 000000019558: D1D30030 04C29F4E
	v_mov_b32_e32 v64, 0xff800000                              // 000000019560: 7E8002FF FF800000
	v_cmp_eq_u32_e64 s[40:41], v64, v12                        // 000000019568: D0CA0028 00021940
	s_nop 1                                                    // 000000019570: BF800001
	v_max_f32_e32 v15, v48, v12                                // 000000019574: 161E1930
	v_mul_f32_e32 v53, s64, v15                                // 000000019578: 0A6A1E40
	v_fma_f32 v128, v128, s64, -v53                            // 00000001957C: D1CB0080 84D48180
	v_fma_f32 v129, v129, s64, -v53                            // 000000019584: D1CB0081 84D48181
	v_fma_f32 v130, v130, s64, -v53                            // 00000001958C: D1CB0082 84D48182
	v_fma_f32 v131, v131, s64, -v53                            // 000000019594: D1CB0083 84D48183
	v_fma_f32 v132, v132, s64, -v53                            // 00000001959C: D1CB0084 84D48184
	v_fma_f32 v133, v133, s64, -v53                            // 0000000195A4: D1CB0085 84D48185
	v_fma_f32 v134, v134, s64, -v53                            // 0000000195AC: D1CB0086 84D48186
	v_fma_f32 v135, v135, s64, -v53                            // 0000000195B4: D1CB0087 84D48187
	v_fma_f32 v136, v136, s64, -v53                            // 0000000195BC: D1CB0088 84D48188
	v_fma_f32 v137, v137, s64, -v53                            // 0000000195C4: D1CB0089 84D48189
	v_fma_f32 v138, v138, s64, -v53                            // 0000000195CC: D1CB008A 84D4818A
	v_fma_f32 v139, v139, s64, -v53                            // 0000000195D4: D1CB008B 84D4818B
	v_fma_f32 v140, v140, s64, -v53                            // 0000000195DC: D1CB008C 84D4818C
	v_fma_f32 v141, v141, s64, -v53                            // 0000000195E4: D1CB008D 84D4818D
	v_fma_f32 v142, v142, s64, -v53                            // 0000000195EC: D1CB008E 84D4818E
	v_fma_f32 v143, v143, s64, -v53                            // 0000000195F4: D1CB008F 84D4818F
	v_exp_f32_e32 v128, v128                                   // 0000000195FC: 7F004180
	v_exp_f32_e32 v129, v129                                   // 000000019600: 7F024181
	v_exp_f32_e32 v130, v130                                   // 000000019604: 7F044182
	v_exp_f32_e32 v131, v131                                   // 000000019608: 7F064183
	v_exp_f32_e32 v132, v132                                   // 00000001960C: 7F084184
	v_exp_f32_e32 v133, v133                                   // 000000019610: 7F0A4185
	v_exp_f32_e32 v134, v134                                   // 000000019614: 7F0C4186
	v_exp_f32_e32 v135, v135                                   // 000000019618: 7F0E4187
	v_exp_f32_e32 v136, v136                                   // 00000001961C: 7F104188
	v_exp_f32_e32 v137, v137                                   // 000000019620: 7F124189
	v_exp_f32_e32 v138, v138                                   // 000000019624: 7F14418A
	v_exp_f32_e32 v139, v139                                   // 000000019628: 7F16418B
	v_exp_f32_e32 v140, v140                                   // 00000001962C: 7F18418C
	v_exp_f32_e32 v141, v141                                   // 000000019630: 7F1A418D
	v_exp_f32_e32 v142, v142                                   // 000000019634: 7F1C418E
	v_exp_f32_e32 v143, v143                                   // 000000019638: 7F1E418F
	v_mul_f32_dpp v240, v252, v128 quad_perm:[0,0,0,0] row_mask:0xf bank_mask:0xf// 00000001963C: 0BE100FA FF0000FC
	v_mul_f32_dpp v241, v252, v129 quad_perm:[1,1,1,1] row_mask:0xf bank_mask:0xf// 000000019644: 0BE302FA FF0055FC
	v_mul_f32_dpp v242, v252, v130 quad_perm:[2,2,2,2] row_mask:0xf bank_mask:0xf// 00000001964C: 0BE504FA FF00AAFC
	v_mul_f32_dpp v243, v252, v131 quad_perm:[3,3,3,3] row_mask:0xf bank_mask:0xf// 000000019654: 0BE706FA FF00FFFC
	v_mul_f32_dpp v244, v253, v132 quad_perm:[0,0,0,0] row_mask:0xf bank_mask:0xf// 00000001965C: 0BE908FA FF0000FD
	v_mul_f32_dpp v245, v253, v133 quad_perm:[1,1,1,1] row_mask:0xf bank_mask:0xf// 000000019664: 0BEB0AFA FF0055FD
	v_mul_f32_dpp v246, v253, v134 quad_perm:[2,2,2,2] row_mask:0xf bank_mask:0xf// 00000001966C: 0BED0CFA FF00AAFD
	v_mul_f32_dpp v247, v253, v135 quad_perm:[3,3,3,3] row_mask:0xf bank_mask:0xf// 000000019674: 0BEF0EFA FF00FFFD
	v_mul_f32_dpp v248, v254, v136 quad_perm:[0,0,0,0] row_mask:0xf bank_mask:0xf// 00000001967C: 0BF110FA FF0000FE
	v_mul_f32_dpp v249, v254, v137 quad_perm:[1,1,1,1] row_mask:0xf bank_mask:0xf// 000000019684: 0BF312FA FF0055FE
	v_mul_f32_dpp v250, v254, v138 quad_perm:[2,2,2,2] row_mask:0xf bank_mask:0xf// 00000001968C: 0BF514FA FF00AAFE
	v_mul_f32_dpp v251, v254, v139 quad_perm:[3,3,3,3] row_mask:0xf bank_mask:0xf// 000000019694: 0BF716FA FF00FFFE
	v_mul_f32_dpp v252, v255, v140 quad_perm:[0,0,0,0] row_mask:0xf bank_mask:0xf// 00000001969C: 0BF918FA FF0000FF
	v_mul_f32_dpp v253, v255, v141 quad_perm:[1,1,1,1] row_mask:0xf bank_mask:0xf// 0000000196A4: 0BFB1AFA FF0055FF
	v_mul_f32_dpp v254, v255, v142 quad_perm:[2,2,2,2] row_mask:0xf bank_mask:0xf// 0000000196AC: 0BFD1CFA FF00AAFF
	v_mul_f32_dpp v255, v255, v143 quad_perm:[3,3,3,3] row_mask:0xf bank_mask:0xf// 0000000196B4: 0BFF1EFA FF00FFFF
	v_mov_b32_e32 v48, 0x358637bd                              // 0000000196BC: 7E6002FF 358637BD
	v_max3_f32 v48, |v240|, |v241|, v48                        // 0000000196C4: D1D30330 04C3E3F0
	v_max3_f32 v48, |v242|, |v243|, v48                        // 0000000196CC: D1D30330 04C3E7F2
	v_max3_f32 v48, |v244|, |v245|, v48                        // 0000000196D4: D1D30330 04C3EBF4
	v_max3_f32 v48, |v246|, |v247|, v48                        // 0000000196DC: D1D30330 04C3EFF6
	v_max3_f32 v48, |v248|, |v249|, v48                        // 0000000196E4: D1D30330 04C3F3F8
	v_max3_f32 v48, |v250|, |v251|, v48                        // 0000000196EC: D1D30330 04C3F7FA
	v_max3_f32 v48, |v252|, |v253|, v48                        // 0000000196F4: D1D30330 04C3FBFC
	v_max3_f32 v48, |v254|, |v255|, v48                        // 0000000196FC: D1D30330 04C3FFFE
	ds_write_b32 v8, v48 offset:20992                          // 000000019704: D81A5200 00003008
	v_sub_f32_e32 v50, v12, v15                                // 00000001970C: 04641F0C
	v_cndmask_b32_e64 v50, v50, 0, s[40:41]                    // 000000019710: D1000032 00A10132
	v_mov_b32_e32 v12, v15                                     // 000000019718: 7E18030F
	v_mul_f32_e32 v50, s64, v50                                // 00000001971C: 0A646440
	v_exp_f32_e32 v50, v50                                     // 000000019720: 7E644132
	s_waitcnt lgkmcnt(0)                                       // 000000019724: BF8CC07F
	s_barrier                                                  // 000000019728: BF8A0000
	ds_read_b32 v64, v7 offset:20992                           // 00000001972C: D86C5200 40000007
	ds_read_b32 v65, v7 offset:21056                           // 000000019734: D86C5240 41000007
	ds_read_b32 v66, v7 offset:21120                           // 00000001973C: D86C5280 42000007
	ds_read_b32 v67, v7 offset:21184                           // 000000019744: D86C52C0 43000007
	ds_read_b32 v68, v7 offset:21248                           // 00000001974C: D86C5300 44000007
	ds_read_b32 v69, v7 offset:21312                           // 000000019754: D86C5340 45000007
	ds_read_b32 v70, v7 offset:21376                           // 00000001975C: D86C5380 46000007
	ds_read_b32 v71, v7 offset:21440                           // 000000019764: D86C53C0 47000007
	ds_read_b32 v72, v7 offset:21504                           // 00000001976C: D86C5400 48000007
	ds_read_b32 v73, v7 offset:21568                           // 000000019774: D86C5440 49000007
	ds_read_b32 v74, v7 offset:21632                           // 00000001977C: D86C5480 4A000007
	ds_read_b32 v75, v7 offset:21696                           // 000000019784: D86C54C0 4B000007
	ds_read_b32 v76, v7 offset:21760                           // 00000001978C: D86C5500 4C000007
	ds_read_b32 v77, v7 offset:21824                           // 000000019794: D86C5540 4D000007
	ds_read_b32 v78, v7 offset:21888                           // 00000001979C: D86C5580 4E000007
	ds_read_b32 v79, v7 offset:21952                           // 0000000197A4: D86C55C0 4F000007
	v_mul_f32_e32 v39, v50, v39                                // 0000000197AC: 0A4E4F32
	v_mov_b32_e32 v15, v128                                    // 0000000197B0: 7E1E0380
	v_add_f32_e32 v15, v129, v15                               // 0000000197B4: 021E1F81
	v_add_f32_e32 v15, v130, v15                               // 0000000197B8: 021E1F82
	v_add_f32_e32 v15, v131, v15                               // 0000000197BC: 021E1F83
	v_add_f32_e32 v15, v132, v15                               // 0000000197C0: 021E1F84
	v_add_f32_e32 v15, v133, v15                               // 0000000197C4: 021E1F85
	v_add_f32_e32 v15, v134, v15                               // 0000000197C8: 021E1F86
	v_add_f32_e32 v15, v135, v15                               // 0000000197CC: 021E1F87
	v_add_f32_e32 v15, v136, v15                               // 0000000197D0: 021E1F88
	v_add_f32_e32 v15, v137, v15                               // 0000000197D4: 021E1F89
	v_add_f32_e32 v15, v138, v15                               // 0000000197D8: 021E1F8A
	v_add_f32_e32 v15, v139, v15                               // 0000000197DC: 021E1F8B
	v_add_f32_e32 v15, v140, v15                               // 0000000197E0: 021E1F8C
	v_add_f32_e32 v15, v141, v15                               // 0000000197E4: 021E1F8D
	v_add_f32_e32 v15, v142, v15                               // 0000000197E8: 021E1F8E
	v_add_f32_e32 v15, v143, v15                               // 0000000197EC: 021E1F8F
	v_add_f32_e32 v39, v15, v39                                // 0000000197F0: 024E4F0F
	s_waitcnt lgkmcnt(0)                                       // 0000000197F4: BF8CC07F
	v_max3_f32 v48, |v64|, |v65|, v48                          // 0000000197F8: D1D30330 04C28340
	v_max3_f32 v48, |v66|, |v67|, v48                          // 000000019800: D1D30330 04C28742
	v_max3_f32 v48, |v68|, |v69|, v48                          // 000000019808: D1D30330 04C28B44
	v_max3_f32 v48, |v70|, |v71|, v48                          // 000000019810: D1D30330 04C28F46
	v_max3_f32 v48, |v72|, |v73|, v48                          // 000000019818: D1D30330 04C29348
	v_max3_f32 v48, |v74|, |v75|, v48                          // 000000019820: D1D30330 04C2974A
	v_max3_f32 v48, |v76|, |v77|, v48                          // 000000019828: D1D30330 04C29B4C
	v_max3_f32 v48, |v78|, |v79|, v48                          // 000000019830: D1D30330 04C29F4E
	s_nop 2                                                    // 000000019838: BF800002
	v_rcp_f32_e32 v48, v48                                     // 00000001983C: 7E604530
	s_nop 1                                                    // 000000019840: BF800001
	v_mul_f32_e32 v48, 0x43700000, v48                         // 000000019844: 0A6060FF 43700000
	v_mul_f32_e32 v128, v48, v240                              // 00000001984C: 0B01E130
	v_mul_f32_e32 v129, v48, v241                              // 000000019850: 0B03E330
	v_mul_f32_e32 v130, v48, v242                              // 000000019854: 0B05E530
	v_mul_f32_e32 v131, v48, v243                              // 000000019858: 0B07E730
	v_mul_f32_e32 v132, v48, v244                              // 00000001985C: 0B09E930
	v_mul_f32_e32 v133, v48, v245                              // 000000019860: 0B0BEB30
	v_mul_f32_e32 v134, v48, v246                              // 000000019864: 0B0DED30
	v_mul_f32_e32 v135, v48, v247                              // 000000019868: 0B0FEF30
	v_mul_f32_e32 v136, v48, v248                              // 00000001986C: 0B11F130
	v_mul_f32_e32 v137, v48, v249                              // 000000019870: 0B13F330
	v_mul_f32_e32 v138, v48, v250                              // 000000019874: 0B15F530
	v_mul_f32_e32 v139, v48, v251                              // 000000019878: 0B17F730
	v_mul_f32_e32 v140, v48, v252                              // 00000001987C: 0B19F930
	v_mul_f32_e32 v141, v48, v253                              // 000000019880: 0B1BFB30
	v_mul_f32_e32 v142, v48, v254                              // 000000019884: 0B1DFD30
	v_mul_f32_e32 v143, v48, v255                              // 000000019888: 0B1FFF30
	v_cvt_pk_fp8_f32 v128, v128, v129                          // 00000001988C: D2A20080 00030380
	v_cvt_pk_fp8_f32 v128, v130, v131 op_sel:[0,0,1]           // 000000019894: D2A24080 00030782
	v_cvt_pk_fp8_f32 v129, v132, v133                          // 00000001989C: D2A20081 00030B84
	v_cvt_pk_fp8_f32 v129, v134, v135 op_sel:[0,0,1]           // 0000000198A4: D2A24081 00030F86
	v_cvt_pk_fp8_f32 v130, v136, v137                          // 0000000198AC: D2A20082 00031388
	v_cvt_pk_fp8_f32 v130, v138, v139 op_sel:[0,0,1]           // 0000000198B4: D2A24082 0003178A
	v_cvt_pk_fp8_f32 v131, v140, v141                          // 0000000198BC: D2A20083 00031B8C
	v_cvt_pk_fp8_f32 v131, v142, v143 op_sel:[0,0,1]           // 0000000198C4: D2A24083 00031F8E
	ds_write_b32 v10, v128 offset:29184                        // 0000000198CC: D81A7200 0000800A
	ds_write_b32 v10, v129 offset:30208                        // 0000000198D4: D81A7600 0000810A
	ds_write_b32 v10, v130 offset:31232                        // 0000000198DC: D81A7A00 0000820A
	ds_write_b32 v10, v131 offset:32256                        // 0000000198E4: D81A7E00 0000830A
	v_add_f32_e32 v216, v216, v184                             // 0000000198EC: 03B171D8
	v_add_f32_e32 v217, v217, v185                             // 0000000198F0: 03B373D9
	v_add_f32_e32 v218, v218, v186                             // 0000000198F4: 03B575DA
	v_add_f32_e32 v219, v219, v187                             // 0000000198F8: 03B777DB
	v_add_f32_e32 v220, v220, v188                             // 0000000198FC: 03B979DC
	v_add_f32_e32 v221, v221, v189                             // 000000019900: 03BB7BDD
	v_add_f32_e32 v222, v222, v190                             // 000000019904: 03BD7DDE
	v_add_f32_e32 v223, v223, v191                             // 000000019908: 03BF7FDF
	v_rcp_f32_e32 v45, v48                                     // 00000001990C: 7E5A4530
	s_waitcnt lgkmcnt(0)                                       // 000000019910: BF8CC07F
	s_barrier                                                  // 000000019914: BF8A0000
	ds_read_b64 v[128:129], v9 offset:29184                    // 000000019918: D8EC7200 80000009
	ds_read_b64 v[130:131], v9 offset:29312                    // 000000019920: D8EC7280 82000009
	ds_read_b64 v[132:133], v9 offset:30208                    // 000000019928: D8EC7600 84000009
	ds_read_b64 v[134:135], v9 offset:30336                    // 000000019930: D8EC7680 86000009
	ds_read_b64 v[136:137], v9 offset:31232                    // 000000019938: D8EC7A00 88000009
	ds_read_b64 v[138:139], v9 offset:31360                    // 000000019940: D8EC7A80 8A000009
	ds_read_b64 v[140:141], v9 offset:32256                    // 000000019948: D8EC7E00 8C000009
	ds_read_b64 v[142:143], v9 offset:32384                    // 000000019950: D8EC7E80 8E000009
	v_mov_b32_dpp v64, v42 row_shr:4 row_mask:0xf bank_mask:0xf// 000000019958: 7E8002FA FF01142A
	v_mov_b32_dpp v65, v42 row_shl:4 row_mask:0xf bank_mask:0xf// 000000019960: 7E8202FA FF01042A
	v_cndmask_b32_e64 v248, v42, v64, s[44:45]                 // 000000019968: D10000F8 00B2812A
	v_cndmask_b32_e64 v249, v65, v42, s[44:45]                 // 000000019970: D10000F9 00B25541
	v_mov_b32_dpp v64, v248 row_shr:8 row_mask:0xf bank_mask:0xf// 000000019978: 7E8002FA FF0118F8
	v_mov_b32_dpp v65, v248 row_shl:8 row_mask:0xf bank_mask:0xf// 000000019980: 7E8202FA FF0108F8
	v_mov_b32_dpp v66, v249 row_shr:8 row_mask:0xf bank_mask:0xf// 000000019988: 7E8402FA FF0118F9
	v_mov_b32_dpp v67, v249 row_shl:8 row_mask:0xf bank_mask:0xf// 000000019990: 7E8602FA FF0108F9
	v_mov_b32_e32 v68, v248                                    // 000000019998: 7E8803F8
	v_mov_b32_e32 v69, v249                                    // 00000001999C: 7E8A03F9
	v_cndmask_b32_e64 v248, v68, v64, s[42:43]                 // 0000000199A0: D10000F8 00AA8144
	v_cndmask_b32_e64 v250, v68, v65, s[78:79]                 // 0000000199A8: D10000FA 013A8344
	v_cndmask_b32_e64 v249, v69, v66, s[42:43]                 // 0000000199B0: D10000F9 00AA8545
	v_cndmask_b32_e64 v251, v69, v67, s[78:79]                 // 0000000199B8: D10000FB 013A8745
	v_mov_b32_dpp v64, v57 row_shr:4 row_mask:0xf bank_mask:0xf// 0000000199C0: 7E8002FA FF011439
	v_mov_b32_dpp v65, v57 row_shl:4 row_mask:0xf bank_mask:0xf// 0000000199C8: 7E8202FA FF010439
	v_cndmask_b32_e64 v252, v57, v64, s[44:45]                 // 0000000199D0: D10000FC 00B28139
	v_cndmask_b32_e64 v253, v65, v57, s[44:45]                 // 0000000199D8: D10000FD 00B27341
	v_mov_b32_dpp v64, v252 row_shr:8 row_mask:0xf bank_mask:0xf// 0000000199E0: 7E8002FA FF0118FC
	v_mov_b32_dpp v65, v252 row_shl:8 row_mask:0xf bank_mask:0xf// 0000000199E8: 7E8202FA FF0108FC
	v_mov_b32_dpp v66, v253 row_shr:8 row_mask:0xf bank_mask:0xf// 0000000199F0: 7E8402FA FF0118FD
	v_mov_b32_dpp v67, v253 row_shl:8 row_mask:0xf bank_mask:0xf// 0000000199F8: 7E8602FA FF0108FD
	v_mov_b32_e32 v68, v252                                    // 000000019A00: 7E8803FC
	v_mov_b32_e32 v69, v253                                    // 000000019A04: 7E8A03FD
	v_cndmask_b32_e64 v252, v68, v64, s[42:43]                 // 000000019A08: D10000FC 00AA8144
	v_cndmask_b32_e64 v254, v68, v65, s[78:79]                 // 000000019A10: D10000FE 013A8344
	v_cndmask_b32_e64 v253, v69, v66, s[42:43]                 // 000000019A18: D10000FD 00AA8545
	v_cndmask_b32_e64 v255, v69, v67, s[78:79]                 // 000000019A20: D10000FF 013A8745
	v_mul_f32_e32 v144, v20, v144                              // 000000019A28: 0B212114
	v_mul_f32_e32 v145, v20, v145                              // 000000019A2C: 0B232314
	v_mul_f32_e32 v146, v20, v146                              // 000000019A30: 0B252514
	v_mul_f32_e32 v147, v20, v147                              // 000000019A34: 0B272714
	v_mul_f32_e32 v148, v20, v148                              // 000000019A38: 0B292914
	v_mul_f32_e32 v149, v20, v149                              // 000000019A3C: 0B2B2B14
	v_mul_f32_e32 v150, v20, v150                              // 000000019A40: 0B2D2D14
	v_mul_f32_e32 v151, v20, v151                              // 000000019A44: 0B2F2F14
	v_mul_f32_e32 v152, v20, v152                              // 000000019A48: 0B313114
	v_mul_f32_e32 v153, v20, v153                              // 000000019A4C: 0B333314
	v_mul_f32_e32 v154, v20, v154                              // 000000019A50: 0B353514
	v_mul_f32_e32 v155, v20, v155                              // 000000019A54: 0B373714
	v_mul_f32_e32 v156, v20, v156                              // 000000019A58: 0B393914
	v_mul_f32_e32 v157, v20, v157                              // 000000019A5C: 0B3B3B14
	v_mul_f32_e32 v158, v20, v158                              // 000000019A60: 0B3D3D14
	v_mul_f32_e32 v159, v20, v159                              // 000000019A64: 0B3F3F14
	v_mul_f32_dpp v144, v248, v144 quad_perm:[0,0,0,0] row_mask:0xf bank_mask:0xf// 000000019A68: 0B2120FA FF0000F8
	v_mul_f32_dpp v145, v248, v145 quad_perm:[1,1,1,1] row_mask:0xf bank_mask:0xf// 000000019A70: 0B2322FA FF0055F8
	v_mul_f32_dpp v146, v248, v146 quad_perm:[2,2,2,2] row_mask:0xf bank_mask:0xf// 000000019A78: 0B2524FA FF00AAF8
	v_mul_f32_dpp v147, v248, v147 quad_perm:[3,3,3,3] row_mask:0xf bank_mask:0xf// 000000019A80: 0B2726FA FF00FFF8
	v_mul_f32_dpp v148, v249, v148 quad_perm:[0,0,0,0] row_mask:0xf bank_mask:0xf// 000000019A88: 0B2928FA FF0000F9
	v_mul_f32_dpp v149, v249, v149 quad_perm:[1,1,1,1] row_mask:0xf bank_mask:0xf// 000000019A90: 0B2B2AFA FF0055F9
	v_mul_f32_dpp v150, v249, v150 quad_perm:[2,2,2,2] row_mask:0xf bank_mask:0xf// 000000019A98: 0B2D2CFA FF00AAF9
	v_mul_f32_dpp v151, v249, v151 quad_perm:[3,3,3,3] row_mask:0xf bank_mask:0xf// 000000019AA0: 0B2F2EFA FF00FFF9
	v_mul_f32_dpp v152, v250, v152 quad_perm:[0,0,0,0] row_mask:0xf bank_mask:0xf// 000000019AA8: 0B3130FA FF0000FA
	v_mul_f32_dpp v153, v250, v153 quad_perm:[1,1,1,1] row_mask:0xf bank_mask:0xf// 000000019AB0: 0B3332FA FF0055FA
	v_mul_f32_dpp v154, v250, v154 quad_perm:[2,2,2,2] row_mask:0xf bank_mask:0xf// 000000019AB8: 0B3534FA FF00AAFA
	v_mul_f32_dpp v155, v250, v155 quad_perm:[3,3,3,3] row_mask:0xf bank_mask:0xf// 000000019AC0: 0B3736FA FF00FFFA
	v_mul_f32_dpp v156, v251, v156 quad_perm:[0,0,0,0] row_mask:0xf bank_mask:0xf// 000000019AC8: 0B3938FA FF0000FB
	v_mul_f32_dpp v157, v251, v157 quad_perm:[1,1,1,1] row_mask:0xf bank_mask:0xf// 000000019AD0: 0B3B3AFA FF0055FB
	v_mul_f32_dpp v158, v251, v158 quad_perm:[2,2,2,2] row_mask:0xf bank_mask:0xf// 000000019AD8: 0B3D3CFA FF00AAFB
	v_mul_f32_dpp v159, v251, v159 quad_perm:[3,3,3,3] row_mask:0xf bank_mask:0xf// 000000019AE0: 0B3F3EFA FF00FFFB
	s_cmp_le_i32 s90, s89                                      // 000000019AE8: BF05595A
	s_cbranch_scc1 label_5EAD                                  // 000000019AEC: BF850071
	v_mov_b32_e32 v66, 0xff800000                              // 000000019AF0: 7E8402FF FF800000
	s_mov_b32 s60, s90                                         // 000000019AF8: BEBC005A
	s_add_u32 s61, s89, 0xff                                   // 000000019AFC: 803DFF59 000000FF
	v_mov_b32_e32 v64, s61                                     // 000000019B04: 7E80023D
	v_lshrrev_b32_e32 v240, 4, v0                              // 000000019B08: 21E00084
	v_mul_i32_i24_e32 v240, 4, v240                            // 000000019B0C: 0DE1E084
	v_add_u32_e32 v240, s60, v240                              // 000000019B10: 69E1E03C
	s_mov_b32 s61, 2                                           // 000000019B14: BEBD0082
	s_mul_i32 s60, 16, s7                                      // 000000019B18: 923C0790
	v_sub_u32_e64 v240, v240, s61                              // 000000019B1C: D13500F0 00007BF0
	v_add_u32_e32 v240, s60, v240                              // 000000019B24: 69E1E03C
	v_add_u32_e32 v241, 1, v240                                // 000000019B28: 69E3E081
	v_add_u32_e32 v242, 2, v240                                // 000000019B2C: 69E5E082
	v_add_u32_e32 v243, 3, v240                                // 000000019B30: 69E7E083
	v_cmp_le_u32_e64 s[40:41], v240, v64                       // 000000019B34: D0CB0028 000281F0
	v_add_u32_e32 v240, 64, v240                               // 000000019B3C: 69E1E0C0
	s_nop 0                                                    // 000000019B40: BF800000
	v_cndmask_b32_e64 v144, v66, v144, s[40:41]                // 000000019B44: D1000090 00A32142
	v_cmp_le_u32_e64 s[40:41], v241, v64                       // 000000019B4C: D0CB0028 000281F1
	v_add_u32_e32 v241, 64, v241                               // 000000019B54: 69E3E2C0
	s_nop 0                                                    // 000000019B58: BF800000
	v_cndmask_b32_e64 v145, v66, v145, s[40:41]                // 000000019B5C: D1000091 00A32342
	v_cmp_le_u32_e64 s[40:41], v242, v64                       // 000000019B64: D0CB0028 000281F2
	v_add_u32_e32 v242, 64, v242                               // 000000019B6C: 69E5E4C0
	s_nop 0                                                    // 000000019B70: BF800000
	v_cndmask_b32_e64 v146, v66, v146, s[40:41]                // 000000019B74: D1000092 00A32542
	v_cmp_le_u32_e64 s[40:41], v243, v64                       // 000000019B7C: D0CB0028 000281F3
	v_add_u32_e32 v243, 64, v243                               // 000000019B84: 69E7E6C0
	s_nop 0                                                    // 000000019B88: BF800000
	v_cndmask_b32_e64 v147, v66, v147, s[40:41]                // 000000019B8C: D1000093 00A32742
	v_cmp_le_u32_e64 s[40:41], v240, v64                       // 000000019B94: D0CB0028 000281F0
	v_add_u32_e32 v240, 64, v240                               // 000000019B9C: 69E1E0C0
	s_nop 0                                                    // 000000019BA0: BF800000
	v_cndmask_b32_e64 v148, v66, v148, s[40:41]                // 000000019BA4: D1000094 00A32942
	v_cmp_le_u32_e64 s[40:41], v241, v64                       // 000000019BAC: D0CB0028 000281F1
	v_add_u32_e32 v241, 64, v241                               // 000000019BB4: 69E3E2C0
	s_nop 0                                                    // 000000019BB8: BF800000
	v_cndmask_b32_e64 v149, v66, v149, s[40:41]                // 000000019BBC: D1000095 00A32B42
	v_cmp_le_u32_e64 s[40:41], v242, v64                       // 000000019BC4: D0CB0028 000281F2
	v_add_u32_e32 v242, 64, v242                               // 000000019BCC: 69E5E4C0
	s_nop 0                                                    // 000000019BD0: BF800000
	v_cndmask_b32_e64 v150, v66, v150, s[40:41]                // 000000019BD4: D1000096 00A32D42
	v_cmp_le_u32_e64 s[40:41], v243, v64                       // 000000019BDC: D0CB0028 000281F3
	v_add_u32_e32 v243, 64, v243                               // 000000019BE4: 69E7E6C0
	s_nop 0                                                    // 000000019BE8: BF800000
	v_cndmask_b32_e64 v151, v66, v151, s[40:41]                // 000000019BEC: D1000097 00A32F42
	v_cmp_le_u32_e64 s[40:41], v240, v64                       // 000000019BF4: D0CB0028 000281F0
	v_add_u32_e32 v240, 64, v240                               // 000000019BFC: 69E1E0C0
	s_nop 0                                                    // 000000019C00: BF800000
	v_cndmask_b32_e64 v152, v66, v152, s[40:41]                // 000000019C04: D1000098 00A33142
	v_cmp_le_u32_e64 s[40:41], v241, v64                       // 000000019C0C: D0CB0028 000281F1
	v_add_u32_e32 v241, 64, v241                               // 000000019C14: 69E3E2C0
	s_nop 0                                                    // 000000019C18: BF800000
	v_cndmask_b32_e64 v153, v66, v153, s[40:41]                // 000000019C1C: D1000099 00A33342
	v_cmp_le_u32_e64 s[40:41], v242, v64                       // 000000019C24: D0CB0028 000281F2
	v_add_u32_e32 v242, 64, v242                               // 000000019C2C: 69E5E4C0
	s_nop 0                                                    // 000000019C30: BF800000
	v_cndmask_b32_e64 v154, v66, v154, s[40:41]                // 000000019C34: D100009A 00A33542
	v_cmp_le_u32_e64 s[40:41], v243, v64                       // 000000019C3C: D0CB0028 000281F3
	v_add_u32_e32 v243, 64, v243                               // 000000019C44: 69E7E6C0
	s_nop 0                                                    // 000000019C48: BF800000
	v_cndmask_b32_e64 v155, v66, v155, s[40:41]                // 000000019C4C: D100009B 00A33742
	v_cmp_le_u32_e64 s[40:41], v240, v64                       // 000000019C54: D0CB0028 000281F0
	v_add_u32_e32 v240, 64, v240                               // 000000019C5C: 69E1E0C0
	s_nop 0                                                    // 000000019C60: BF800000
	v_cndmask_b32_e64 v156, v66, v156, s[40:41]                // 000000019C64: D100009C 00A33942
	v_cmp_le_u32_e64 s[40:41], v241, v64                       // 000000019C6C: D0CB0028 000281F1
	v_add_u32_e32 v241, 64, v241                               // 000000019C74: 69E3E2C0
	s_nop 0                                                    // 000000019C78: BF800000
	v_cndmask_b32_e64 v157, v66, v157, s[40:41]                // 000000019C7C: D100009D 00A33B42
	v_cmp_le_u32_e64 s[40:41], v242, v64                       // 000000019C84: D0CB0028 000281F2
	v_add_u32_e32 v242, 64, v242                               // 000000019C8C: 69E5E4C0
	s_nop 0                                                    // 000000019C90: BF800000
	v_cndmask_b32_e64 v158, v66, v158, s[40:41]                // 000000019C94: D100009E 00A33D42
	v_cmp_le_u32_e64 s[40:41], v243, v64                       // 000000019C9C: D0CB0028 000281F3
	v_add_u32_e32 v243, 64, v243                               // 000000019CA4: 69E7E6C0
	s_nop 0                                                    // 000000019CA8: BF800000
	v_cndmask_b32_e64 v159, v66, v159, s[40:41]                // 000000019CAC: D100009F 00A33F42

0000000000019cb4 <label_5EAD>:
	s_add_u32 s90, s91, s90                                    // 000000019CB4: 805A5A5B
	s_and_b32 s60, s72, 0xff                                   // 000000019CB8: 863CFF48 000000FF
	v_mov_b32_e32 v65, s60                                     // 000000019CC0: 7E82023C
	v_lshrrev_b32_e32 v240, 4, v0                              // 000000019CC4: 21E00084
	v_mul_i32_i24_e32 v240, 4, v240                            // 000000019CC8: 0DE1E084
	s_mul_i32 s60, s7, 16                                      // 000000019CCC: 923C9007
	v_add_u32_e32 v240, s60, v240                              // 000000019CD0: 69E1E03C
	v_add_u32_e32 v241, 1, v240                                // 000000019CD4: 69E3E081
	v_add_u32_e32 v242, 2, v240                                // 000000019CD8: 69E5E082
	v_add_u32_e32 v243, 3, v240                                // 000000019CDC: 69E7E083
	v_mov_b32_e32 v64, 0xff800000                              // 000000019CE0: 7E8002FF FF800000
	v_cmp_lt_u32_e64 s[40:41], v240, v65                       // 000000019CE8: D0C90028 000283F0
	v_add_u32_e32 v240, 64, v240                               // 000000019CF0: 69E1E0C0
	s_nop 0                                                    // 000000019CF4: BF800000
	v_cndmask_b32_e64 v144, v64, v144, s[40:41]                // 000000019CF8: D1000090 00A32140
	v_cmp_lt_u32_e64 s[40:41], v241, v65                       // 000000019D00: D0C90028 000283F1
	v_add_u32_e32 v241, 64, v241                               // 000000019D08: 69E3E2C0
	s_nop 0                                                    // 000000019D0C: BF800000
	v_cndmask_b32_e64 v145, v64, v145, s[40:41]                // 000000019D10: D1000091 00A32340
	v_cmp_lt_u32_e64 s[40:41], v242, v65                       // 000000019D18: D0C90028 000283F2
	v_add_u32_e32 v242, 64, v242                               // 000000019D20: 69E5E4C0
	s_nop 0                                                    // 000000019D24: BF800000
	v_cndmask_b32_e64 v146, v64, v146, s[40:41]                // 000000019D28: D1000092 00A32540
	v_cmp_lt_u32_e64 s[40:41], v243, v65                       // 000000019D30: D0C90028 000283F3
	v_add_u32_e32 v243, 64, v243                               // 000000019D38: 69E7E6C0
	s_nop 0                                                    // 000000019D3C: BF800000
	v_cndmask_b32_e64 v147, v64, v147, s[40:41]                // 000000019D40: D1000093 00A32740
	v_cmp_lt_u32_e64 s[40:41], v240, v65                       // 000000019D48: D0C90028 000283F0
	v_add_u32_e32 v240, 64, v240                               // 000000019D50: 69E1E0C0
	s_nop 0                                                    // 000000019D54: BF800000
	v_cndmask_b32_e64 v148, v64, v148, s[40:41]                // 000000019D58: D1000094 00A32940
	v_cmp_lt_u32_e64 s[40:41], v241, v65                       // 000000019D60: D0C90028 000283F1
	v_add_u32_e32 v241, 64, v241                               // 000000019D68: 69E3E2C0
	s_nop 0                                                    // 000000019D6C: BF800000
	v_cndmask_b32_e64 v149, v64, v149, s[40:41]                // 000000019D70: D1000095 00A32B40
	v_cmp_lt_u32_e64 s[40:41], v242, v65                       // 000000019D78: D0C90028 000283F2
	v_add_u32_e32 v242, 64, v242                               // 000000019D80: 69E5E4C0
	s_nop 0                                                    // 000000019D84: BF800000
	v_cndmask_b32_e64 v150, v64, v150, s[40:41]                // 000000019D88: D1000096 00A32D40
	v_cmp_lt_u32_e64 s[40:41], v243, v65                       // 000000019D90: D0C90028 000283F3
	v_add_u32_e32 v243, 64, v243                               // 000000019D98: 69E7E6C0
	s_nop 0                                                    // 000000019D9C: BF800000
	v_cndmask_b32_e64 v151, v64, v151, s[40:41]                // 000000019DA0: D1000097 00A32F40
	v_cmp_lt_u32_e64 s[40:41], v240, v65                       // 000000019DA8: D0C90028 000283F0
	v_add_u32_e32 v240, 64, v240                               // 000000019DB0: 69E1E0C0
	s_nop 0                                                    // 000000019DB4: BF800000
	v_cndmask_b32_e64 v152, v64, v152, s[40:41]                // 000000019DB8: D1000098 00A33140
	v_cmp_lt_u32_e64 s[40:41], v241, v65                       // 000000019DC0: D0C90028 000283F1
	v_add_u32_e32 v241, 64, v241                               // 000000019DC8: 69E3E2C0
	s_nop 0                                                    // 000000019DCC: BF800000
	v_cndmask_b32_e64 v153, v64, v153, s[40:41]                // 000000019DD0: D1000099 00A33340
	v_cmp_lt_u32_e64 s[40:41], v242, v65                       // 000000019DD8: D0C90028 000283F2
	v_add_u32_e32 v242, 64, v242                               // 000000019DE0: 69E5E4C0
	s_nop 0                                                    // 000000019DE4: BF800000
	v_cndmask_b32_e64 v154, v64, v154, s[40:41]                // 000000019DE8: D100009A 00A33540
	v_cmp_lt_u32_e64 s[40:41], v243, v65                       // 000000019DF0: D0C90028 000283F3
	v_add_u32_e32 v243, 64, v243                               // 000000019DF8: 69E7E6C0
	s_nop 0                                                    // 000000019DFC: BF800000
	v_cndmask_b32_e64 v155, v64, v155, s[40:41]                // 000000019E00: D100009B 00A33740
	v_cmp_lt_u32_e64 s[40:41], v240, v65                       // 000000019E08: D0C90028 000283F0
	v_add_u32_e32 v240, 64, v240                               // 000000019E10: 69E1E0C0
	s_nop 0                                                    // 000000019E14: BF800000
	v_cndmask_b32_e64 v156, v64, v156, s[40:41]                // 000000019E18: D100009C 00A33940
	v_cmp_lt_u32_e64 s[40:41], v241, v65                       // 000000019E20: D0C90028 000283F1
	v_add_u32_e32 v241, 64, v241                               // 000000019E28: 69E3E2C0
	s_nop 0                                                    // 000000019E2C: BF800000
	v_cndmask_b32_e64 v157, v64, v157, s[40:41]                // 000000019E30: D100009D 00A33B40
	v_cmp_lt_u32_e64 s[40:41], v242, v65                       // 000000019E38: D0C90028 000283F2
	v_add_u32_e32 v242, 64, v242                               // 000000019E40: 69E5E4C0
	s_nop 0                                                    // 000000019E44: BF800000
	v_cndmask_b32_e64 v158, v64, v158, s[40:41]                // 000000019E48: D100009E 00A33D40
	v_cmp_lt_u32_e64 s[40:41], v243, v65                       // 000000019E50: D0C90028 000283F3
	v_add_u32_e32 v243, 64, v243                               // 000000019E58: 69E7E6C0
	s_nop 0                                                    // 000000019E5C: BF800000
	v_cndmask_b32_e64 v159, v64, v159, s[40:41]                // 000000019E60: D100009F 00A33F40
	v_mov_b32_e32 v48, v144                                    // 000000019E68: 7E600390
	v_max3_f32 v48, v144, v145, v48                            // 000000019E6C: D1D30030 04C32390
	v_max3_f32 v48, v146, v147, v48                            // 000000019E74: D1D30030 04C32792
	v_max3_f32 v48, v148, v149, v48                            // 000000019E7C: D1D30030 04C32B94
	v_max3_f32 v48, v150, v151, v48                            // 000000019E84: D1D30030 04C32F96
	v_max3_f32 v48, v152, v153, v48                            // 000000019E8C: D1D30030 04C33398
	v_max3_f32 v48, v154, v155, v48                            // 000000019E94: D1D30030 04C3379A
	v_max3_f32 v48, v156, v157, v48                            // 000000019E9C: D1D30030 04C33B9C
	v_max3_f32 v48, v158, v159, v48                            // 000000019EA4: D1D30030 04C33F9E
	ds_write_b32 v8, v48 offset:16896                          // 000000019EAC: D81A4200 00003008
	v_mul_f32_e32 v224, v51, v224                              // 000000019EB4: 0BC1C133
	v_mul_f32_e32 v225, v51, v225                              // 000000019EB8: 0BC3C333
	v_mul_f32_e32 v226, v51, v226                              // 000000019EBC: 0BC5C533
	v_mul_f32_e32 v227, v51, v227                              // 000000019EC0: 0BC7C733
	v_mul_f32_e32 v228, v51, v228                              // 000000019EC4: 0BC9C933
	v_mul_f32_e32 v229, v51, v229                              // 000000019EC8: 0BCBCB33
	v_mul_f32_e32 v230, v51, v230                              // 000000019ECC: 0BCDCD33
	v_mul_f32_e32 v231, v51, v231                              // 000000019ED0: 0BCFCF33
	s_waitcnt lgkmcnt(0)                                       // 000000019ED4: BF8CC07F
	s_barrier                                                  // 000000019ED8: BF8A0000
	ds_read_b32 v64, v7 offset:16896                           // 000000019EDC: D86C4200 40000007
	ds_read_b32 v65, v7 offset:16960                           // 000000019EE4: D86C4240 41000007
	ds_read_b32 v66, v7 offset:17024                           // 000000019EEC: D86C4280 42000007
	ds_read_b32 v67, v7 offset:17088                           // 000000019EF4: D86C42C0 43000007
	ds_read_b32 v68, v7 offset:17152                           // 000000019EFC: D86C4300 44000007
	ds_read_b32 v69, v7 offset:17216                           // 000000019F04: D86C4340 45000007
	ds_read_b32 v70, v7 offset:17280                           // 000000019F0C: D86C4380 46000007
	ds_read_b32 v71, v7 offset:17344                           // 000000019F14: D86C43C0 47000007
	ds_read_b32 v72, v7 offset:17408                           // 000000019F1C: D86C4400 48000007
	ds_read_b32 v73, v7 offset:17472                           // 000000019F24: D86C4440 49000007
	ds_read_b32 v74, v7 offset:17536                           // 000000019F2C: D86C4480 4A000007
	ds_read_b32 v75, v7 offset:17600                           // 000000019F34: D86C44C0 4B000007
	ds_read_b32 v76, v7 offset:17664                           // 000000019F3C: D86C4500 4C000007
	ds_read_b32 v77, v7 offset:17728                           // 000000019F44: D86C4540 4D000007
	ds_read_b32 v78, v7 offset:17792                           // 000000019F4C: D86C4580 4E000007
	ds_read_b32 v79, v7 offset:17856                           // 000000019F54: D86C45C0 4F000007
	v_mul_f32_e32 v192, v46, v192                              // 000000019F5C: 0B81812E
	v_mul_f32_e32 v193, v46, v193                              // 000000019F60: 0B83832E
	v_mul_f32_e32 v194, v46, v194                              // 000000019F64: 0B85852E
	v_mul_f32_e32 v195, v46, v195                              // 000000019F68: 0B87872E
	v_mul_f32_e32 v196, v46, v196                              // 000000019F6C: 0B89892E
	v_mul_f32_e32 v197, v46, v197                              // 000000019F70: 0B8B8B2E
	v_mul_f32_e32 v198, v46, v198                              // 000000019F74: 0B8D8D2E
	v_mul_f32_e32 v199, v46, v199                              // 000000019F78: 0B8F8F2E
	s_waitcnt lgkmcnt(0)                                       // 000000019F7C: BF8CC07F
	v_max3_f32 v48, v64, v65, v48                              // 000000019F80: D1D30030 04C28340
	v_max3_f32 v48, v66, v67, v48                              // 000000019F88: D1D30030 04C28742
	v_max3_f32 v48, v68, v69, v48                              // 000000019F90: D1D30030 04C28B44
	v_max3_f32 v48, v70, v71, v48                              // 000000019F98: D1D30030 04C28F46
	v_max3_f32 v48, v72, v73, v48                              // 000000019FA0: D1D30030 04C29348
	v_max3_f32 v48, v74, v75, v48                              // 000000019FA8: D1D30030 04C2974A
	v_max3_f32 v48, v76, v77, v48                              // 000000019FB0: D1D30030 04C29B4C
	v_max3_f32 v48, v78, v79, v48                              // 000000019FB8: D1D30030 04C29F4E
	v_mov_b32_e32 v64, 0xff800000                              // 000000019FC0: 7E8002FF FF800000
	v_cmp_eq_u32_e64 s[40:41], v64, v13                        // 000000019FC8: D0CA0028 00021B40
	s_nop 1                                                    // 000000019FD0: BF800001
	v_max_f32_e32 v15, v48, v13                                // 000000019FD4: 161E1B30
	v_mul_f32_e32 v53, s64, v15                                // 000000019FD8: 0A6A1E40
	v_fma_f32 v144, v144, s64, -v53                            // 000000019FDC: D1CB0090 84D48190
	v_fma_f32 v145, v145, s64, -v53                            // 000000019FE4: D1CB0091 84D48191
	v_fma_f32 v146, v146, s64, -v53                            // 000000019FEC: D1CB0092 84D48192
	v_fma_f32 v147, v147, s64, -v53                            // 000000019FF4: D1CB0093 84D48193
	v_fma_f32 v148, v148, s64, -v53                            // 000000019FFC: D1CB0094 84D48194
	v_fma_f32 v149, v149, s64, -v53                            // 00000001A004: D1CB0095 84D48195
	v_fma_f32 v150, v150, s64, -v53                            // 00000001A00C: D1CB0096 84D48196
	v_fma_f32 v151, v151, s64, -v53                            // 00000001A014: D1CB0097 84D48197
	v_fma_f32 v152, v152, s64, -v53                            // 00000001A01C: D1CB0098 84D48198
	v_fma_f32 v153, v153, s64, -v53                            // 00000001A024: D1CB0099 84D48199
	v_fma_f32 v154, v154, s64, -v53                            // 00000001A02C: D1CB009A 84D4819A
	v_fma_f32 v155, v155, s64, -v53                            // 00000001A034: D1CB009B 84D4819B
	v_fma_f32 v156, v156, s64, -v53                            // 00000001A03C: D1CB009C 84D4819C
	v_fma_f32 v157, v157, s64, -v53                            // 00000001A044: D1CB009D 84D4819D
	v_fma_f32 v158, v158, s64, -v53                            // 00000001A04C: D1CB009E 84D4819E
	v_fma_f32 v159, v159, s64, -v53                            // 00000001A054: D1CB009F 84D4819F
	v_exp_f32_e32 v144, v144                                   // 00000001A05C: 7F204190
	v_exp_f32_e32 v145, v145                                   // 00000001A060: 7F224191
	v_exp_f32_e32 v146, v146                                   // 00000001A064: 7F244192
	v_exp_f32_e32 v147, v147                                   // 00000001A068: 7F264193
	v_exp_f32_e32 v148, v148                                   // 00000001A06C: 7F284194
	v_exp_f32_e32 v149, v149                                   // 00000001A070: 7F2A4195
	v_exp_f32_e32 v150, v150                                   // 00000001A074: 7F2C4196
	v_exp_f32_e32 v151, v151                                   // 00000001A078: 7F2E4197
	v_exp_f32_e32 v152, v152                                   // 00000001A07C: 7F304198
	v_exp_f32_e32 v153, v153                                   // 00000001A080: 7F324199
	v_exp_f32_e32 v154, v154                                   // 00000001A084: 7F34419A
	v_exp_f32_e32 v155, v155                                   // 00000001A088: 7F36419B
	v_exp_f32_e32 v156, v156                                   // 00000001A08C: 7F38419C
	v_exp_f32_e32 v157, v157                                   // 00000001A090: 7F3A419D
	v_exp_f32_e32 v158, v158                                   // 00000001A094: 7F3C419E
	v_exp_f32_e32 v159, v159                                   // 00000001A098: 7F3E419F
	v_mul_f32_dpp v240, v252, v144 quad_perm:[0,0,0,0] row_mask:0xf bank_mask:0xf// 00000001A09C: 0BE120FA FF0000FC
	v_mul_f32_dpp v241, v252, v145 quad_perm:[1,1,1,1] row_mask:0xf bank_mask:0xf// 00000001A0A4: 0BE322FA FF0055FC
	v_mul_f32_dpp v242, v252, v146 quad_perm:[2,2,2,2] row_mask:0xf bank_mask:0xf// 00000001A0AC: 0BE524FA FF00AAFC
	v_mul_f32_dpp v243, v252, v147 quad_perm:[3,3,3,3] row_mask:0xf bank_mask:0xf// 00000001A0B4: 0BE726FA FF00FFFC
	v_mul_f32_dpp v244, v253, v148 quad_perm:[0,0,0,0] row_mask:0xf bank_mask:0xf// 00000001A0BC: 0BE928FA FF0000FD
	v_mul_f32_dpp v245, v253, v149 quad_perm:[1,1,1,1] row_mask:0xf bank_mask:0xf// 00000001A0C4: 0BEB2AFA FF0055FD
	v_mul_f32_dpp v246, v253, v150 quad_perm:[2,2,2,2] row_mask:0xf bank_mask:0xf// 00000001A0CC: 0BED2CFA FF00AAFD
	v_mul_f32_dpp v247, v253, v151 quad_perm:[3,3,3,3] row_mask:0xf bank_mask:0xf// 00000001A0D4: 0BEF2EFA FF00FFFD
	v_mul_f32_dpp v248, v254, v152 quad_perm:[0,0,0,0] row_mask:0xf bank_mask:0xf// 00000001A0DC: 0BF130FA FF0000FE
	v_mul_f32_dpp v249, v254, v153 quad_perm:[1,1,1,1] row_mask:0xf bank_mask:0xf// 00000001A0E4: 0BF332FA FF0055FE
	v_mul_f32_dpp v250, v254, v154 quad_perm:[2,2,2,2] row_mask:0xf bank_mask:0xf// 00000001A0EC: 0BF534FA FF00AAFE
	v_mul_f32_dpp v251, v254, v155 quad_perm:[3,3,3,3] row_mask:0xf bank_mask:0xf// 00000001A0F4: 0BF736FA FF00FFFE
	v_mul_f32_dpp v252, v255, v156 quad_perm:[0,0,0,0] row_mask:0xf bank_mask:0xf// 00000001A0FC: 0BF938FA FF0000FF
	v_mul_f32_dpp v253, v255, v157 quad_perm:[1,1,1,1] row_mask:0xf bank_mask:0xf// 00000001A104: 0BFB3AFA FF0055FF
	v_mul_f32_dpp v254, v255, v158 quad_perm:[2,2,2,2] row_mask:0xf bank_mask:0xf// 00000001A10C: 0BFD3CFA FF00AAFF
	v_mul_f32_dpp v255, v255, v159 quad_perm:[3,3,3,3] row_mask:0xf bank_mask:0xf// 00000001A114: 0BFF3EFA FF00FFFF
	v_mov_b32_e32 v48, 0x358637bd                              // 00000001A11C: 7E6002FF 358637BD
	v_max3_f32 v48, |v240|, |v241|, v48                        // 00000001A124: D1D30330 04C3E3F0
	v_max3_f32 v48, |v242|, |v243|, v48                        // 00000001A12C: D1D30330 04C3E7F2
	v_max3_f32 v48, |v244|, |v245|, v48                        // 00000001A134: D1D30330 04C3EBF4
	v_max3_f32 v48, |v246|, |v247|, v48                        // 00000001A13C: D1D30330 04C3EFF6
	v_max3_f32 v48, |v248|, |v249|, v48                        // 00000001A144: D1D30330 04C3F3F8
	v_max3_f32 v48, |v250|, |v251|, v48                        // 00000001A14C: D1D30330 04C3F7FA
	v_max3_f32 v48, |v252|, |v253|, v48                        // 00000001A154: D1D30330 04C3FBFC
	v_max3_f32 v48, |v254|, |v255|, v48                        // 00000001A15C: D1D30330 04C3FFFE
	ds_write_b32 v8, v48 offset:20992                          // 00000001A164: D81A5200 00003008
	v_sub_f32_e32 v51, v13, v15                                // 00000001A16C: 04661F0D
	v_cndmask_b32_e64 v51, v51, 0, s[40:41]                    // 00000001A170: D1000033 00A10133
	v_mov_b32_e32 v13, v15                                     // 00000001A178: 7E1A030F
	v_mul_f32_e32 v51, s64, v51                                // 00000001A17C: 0A666640
	v_exp_f32_e32 v51, v51                                     // 00000001A180: 7E664133
	s_waitcnt lgkmcnt(0)                                       // 00000001A184: BF8CC07F
	s_barrier                                                  // 00000001A188: BF8A0000
	ds_read_b32 v64, v7 offset:20992                           // 00000001A18C: D86C5200 40000007
	ds_read_b32 v65, v7 offset:21056                           // 00000001A194: D86C5240 41000007
	ds_read_b32 v66, v7 offset:21120                           // 00000001A19C: D86C5280 42000007
	ds_read_b32 v67, v7 offset:21184                           // 00000001A1A4: D86C52C0 43000007
	ds_read_b32 v68, v7 offset:21248                           // 00000001A1AC: D86C5300 44000007
	ds_read_b32 v69, v7 offset:21312                           // 00000001A1B4: D86C5340 45000007
	ds_read_b32 v70, v7 offset:21376                           // 00000001A1BC: D86C5380 46000007
	ds_read_b32 v71, v7 offset:21440                           // 00000001A1C4: D86C53C0 47000007
	ds_read_b32 v72, v7 offset:21504                           // 00000001A1CC: D86C5400 48000007
	ds_read_b32 v73, v7 offset:21568                           // 00000001A1D4: D86C5440 49000007
	ds_read_b32 v74, v7 offset:21632                           // 00000001A1DC: D86C5480 4A000007
	ds_read_b32 v75, v7 offset:21696                           // 00000001A1E4: D86C54C0 4B000007
	ds_read_b32 v76, v7 offset:21760                           // 00000001A1EC: D86C5500 4C000007
	ds_read_b32 v77, v7 offset:21824                           // 00000001A1F4: D86C5540 4D000007
	ds_read_b32 v78, v7 offset:21888                           // 00000001A1FC: D86C5580 4E000007
	ds_read_b32 v79, v7 offset:21952                           // 00000001A204: D86C55C0 4F000007
	v_mul_f32_e32 v40, v51, v40                                // 00000001A20C: 0A505133
	v_mov_b32_e32 v15, v144                                    // 00000001A210: 7E1E0390
	v_add_f32_e32 v15, v145, v15                               // 00000001A214: 021E1F91
	v_add_f32_e32 v15, v146, v15                               // 00000001A218: 021E1F92
	v_add_f32_e32 v15, v147, v15                               // 00000001A21C: 021E1F93
	v_add_f32_e32 v15, v148, v15                               // 00000001A220: 021E1F94
	v_add_f32_e32 v15, v149, v15                               // 00000001A224: 021E1F95
	v_add_f32_e32 v15, v150, v15                               // 00000001A228: 021E1F96
	v_add_f32_e32 v15, v151, v15                               // 00000001A22C: 021E1F97
	v_add_f32_e32 v15, v152, v15                               // 00000001A230: 021E1F98
	v_add_f32_e32 v15, v153, v15                               // 00000001A234: 021E1F99
	v_add_f32_e32 v15, v154, v15                               // 00000001A238: 021E1F9A
	v_add_f32_e32 v15, v155, v15                               // 00000001A23C: 021E1F9B
	v_add_f32_e32 v15, v156, v15                               // 00000001A240: 021E1F9C
	v_add_f32_e32 v15, v157, v15                               // 00000001A244: 021E1F9D
	v_add_f32_e32 v15, v158, v15                               // 00000001A248: 021E1F9E
	v_add_f32_e32 v15, v159, v15                               // 00000001A24C: 021E1F9F
	v_add_f32_e32 v40, v15, v40                                // 00000001A250: 0250510F
	s_waitcnt lgkmcnt(0)                                       // 00000001A254: BF8CC07F
	v_max3_f32 v48, |v64|, |v65|, v48                          // 00000001A258: D1D30330 04C28340
	v_max3_f32 v48, |v66|, |v67|, v48                          // 00000001A260: D1D30330 04C28742
	v_max3_f32 v48, |v68|, |v69|, v48                          // 00000001A268: D1D30330 04C28B44
	v_max3_f32 v48, |v70|, |v71|, v48                          // 00000001A270: D1D30330 04C28F46
	v_max3_f32 v48, |v72|, |v73|, v48                          // 00000001A278: D1D30330 04C29348
	v_max3_f32 v48, |v74|, |v75|, v48                          // 00000001A280: D1D30330 04C2974A
	v_max3_f32 v48, |v76|, |v77|, v48                          // 00000001A288: D1D30330 04C29B4C
	v_max3_f32 v48, |v78|, |v79|, v48                          // 00000001A290: D1D30330 04C29F4E
	s_nop 2                                                    // 00000001A298: BF800002
	v_rcp_f32_e32 v48, v48                                     // 00000001A29C: 7E604530
	s_nop 1                                                    // 00000001A2A0: BF800001
	v_mul_f32_e32 v48, 0x43700000, v48                         // 00000001A2A4: 0A6060FF 43700000
	v_mul_f32_e32 v144, v48, v240                              // 00000001A2AC: 0B21E130
	v_mul_f32_e32 v145, v48, v241                              // 00000001A2B0: 0B23E330
	v_mul_f32_e32 v146, v48, v242                              // 00000001A2B4: 0B25E530
	v_mul_f32_e32 v147, v48, v243                              // 00000001A2B8: 0B27E730
	v_mul_f32_e32 v148, v48, v244                              // 00000001A2BC: 0B29E930
	v_mul_f32_e32 v149, v48, v245                              // 00000001A2C0: 0B2BEB30
	v_mul_f32_e32 v150, v48, v246                              // 00000001A2C4: 0B2DED30
	v_mul_f32_e32 v151, v48, v247                              // 00000001A2C8: 0B2FEF30
	v_mul_f32_e32 v152, v48, v248                              // 00000001A2CC: 0B31F130
	v_mul_f32_e32 v153, v48, v249                              // 00000001A2D0: 0B33F330
	v_mul_f32_e32 v154, v48, v250                              // 00000001A2D4: 0B35F530
	v_mul_f32_e32 v155, v48, v251                              // 00000001A2D8: 0B37F730
	v_mul_f32_e32 v156, v48, v252                              // 00000001A2DC: 0B39F930
	v_mul_f32_e32 v157, v48, v253                              // 00000001A2E0: 0B3BFB30
	v_mul_f32_e32 v158, v48, v254                              // 00000001A2E4: 0B3DFD30
	v_mul_f32_e32 v159, v48, v255                              // 00000001A2E8: 0B3FFF30
	v_cvt_pk_fp8_f32 v144, v144, v145                          // 00000001A2EC: D2A20090 00032390
	v_cvt_pk_fp8_f32 v144, v146, v147 op_sel:[0,0,1]           // 00000001A2F4: D2A24090 00032792
	v_cvt_pk_fp8_f32 v145, v148, v149                          // 00000001A2FC: D2A20091 00032B94
	v_cvt_pk_fp8_f32 v145, v150, v151 op_sel:[0,0,1]           // 00000001A304: D2A24091 00032F96
	v_cvt_pk_fp8_f32 v146, v152, v153                          // 00000001A30C: D2A20092 00033398
	v_cvt_pk_fp8_f32 v146, v154, v155 op_sel:[0,0,1]           // 00000001A314: D2A24092 0003379A
	v_cvt_pk_fp8_f32 v147, v156, v157                          // 00000001A31C: D2A20093 00033B9C
	v_cvt_pk_fp8_f32 v147, v158, v159 op_sel:[0,0,1]           // 00000001A324: D2A24093 00033F9E
	ds_write_b32 v10, v144 offset:33280                        // 00000001A32C: D81A8200 0000900A
	ds_write_b32 v10, v145 offset:34304                        // 00000001A334: D81A8600 0000910A
	ds_write_b32 v10, v146 offset:35328                        // 00000001A33C: D81A8A00 0000920A
	ds_write_b32 v10, v147 offset:36352                        // 00000001A344: D81A8E00 0000930A
	v_add_f32_e32 v224, v224, v192                             // 00000001A34C: 03C181E0
	v_add_f32_e32 v225, v225, v193                             // 00000001A350: 03C383E1
	v_add_f32_e32 v226, v226, v194                             // 00000001A354: 03C585E2
	v_add_f32_e32 v227, v227, v195                             // 00000001A358: 03C787E3
	v_add_f32_e32 v228, v228, v196                             // 00000001A35C: 03C989E4
	v_add_f32_e32 v229, v229, v197                             // 00000001A360: 03CB8BE5
	v_add_f32_e32 v230, v230, v198                             // 00000001A364: 03CD8DE6
	v_add_f32_e32 v231, v231, v199                             // 00000001A368: 03CF8FE7
	v_rcp_f32_e32 v46, v48                                     // 00000001A36C: 7E5C4530
	s_waitcnt lgkmcnt(0)                                       // 00000001A370: BF8CC07F
	s_barrier                                                  // 00000001A374: BF8A0000
	ds_read_b64 v[144:145], v9 offset:33280                    // 00000001A378: D8EC8200 90000009
	ds_read_b64 v[146:147], v9 offset:33408                    // 00000001A380: D8EC8280 92000009
	ds_read_b64 v[148:149], v9 offset:34304                    // 00000001A388: D8EC8600 94000009
	ds_read_b64 v[150:151], v9 offset:34432                    // 00000001A390: D8EC8680 96000009
	ds_read_b64 v[152:153], v9 offset:35328                    // 00000001A398: D8EC8A00 98000009
	ds_read_b64 v[154:155], v9 offset:35456                    // 00000001A3A0: D8EC8A80 9A000009
	ds_read_b64 v[156:157], v9 offset:36352                    // 00000001A3A8: D8EC8E00 9C000009
	ds_read_b64 v[158:159], v9 offset:36480                    // 00000001A3B0: D8EC8E80 9E000009
	s_waitcnt vmcnt(0)                                         // 00000001A3B8: BF8C0F70
	s_barrier                                                  // 00000001A3BC: BF8A0000
	v_mfma_f32_16x16x32_fp8_fp8 v[176:179], a[64:65], v[112:113], 0// 00000001A3C0: D3F300B0 0A02E140
	v_mfma_f32_16x16x32_fp8_fp8 v[176:179], a[66:67], v[114:115], v[176:179]// 00000001A3C8: D3F300B0 0EC2E542
	v_mfma_f32_16x16x32_fp8_fp8 v[176:179], a[68:69], v[116:117], v[176:179]// 00000001A3D0: D3F300B0 0EC2E944
	v_mfma_f32_16x16x32_fp8_fp8 v[176:179], a[70:71], v[118:119], v[176:179]// 00000001A3D8: D3F300B0 0EC2ED46
	v_mfma_f32_16x16x32_fp8_fp8 v[176:179], a[72:73], v[120:121], v[176:179]// 00000001A3E0: D3F300B0 0EC2F148
	v_mfma_f32_16x16x32_fp8_fp8 v[176:179], a[74:75], v[122:123], v[176:179]// 00000001A3E8: D3F300B0 0EC2F54A
	v_mfma_f32_16x16x32_fp8_fp8 v[176:179], a[76:77], v[124:125], v[176:179]// 00000001A3F0: D3F300B0 0EC2F94C
	v_mfma_f32_16x16x32_fp8_fp8 v[176:179], a[78:79], v[126:127], v[176:179]// 00000001A3F8: D3F300B0 0EC2FD4E
	v_mfma_f32_16x16x32_fp8_fp8 v[180:183], a[80:81], v[112:113], 0// 00000001A400: D3F300B4 0A02E150
	v_mfma_f32_16x16x32_fp8_fp8 v[180:183], a[82:83], v[114:115], v[180:183]// 00000001A408: D3F300B4 0ED2E552
	v_mfma_f32_16x16x32_fp8_fp8 v[180:183], a[84:85], v[116:117], v[180:183]// 00000001A410: D3F300B4 0ED2E954
	v_mfma_f32_16x16x32_fp8_fp8 v[180:183], a[86:87], v[118:119], v[180:183]// 00000001A418: D3F300B4 0ED2ED56
	v_mfma_f32_16x16x32_fp8_fp8 v[180:183], a[88:89], v[120:121], v[180:183]// 00000001A420: D3F300B4 0ED2F158
	v_mfma_f32_16x16x32_fp8_fp8 v[180:183], a[90:91], v[122:123], v[180:183]// 00000001A428: D3F300B4 0ED2F55A
	v_mfma_f32_16x16x32_fp8_fp8 v[180:183], a[92:93], v[124:125], v[180:183]// 00000001A430: D3F300B4 0ED2F95C
	v_mfma_f32_16x16x32_fp8_fp8 v[180:183], a[94:95], v[126:127], v[180:183]// 00000001A438: D3F300B4 0ED2FD5E
	v_mfma_f32_16x16x32_fp8_fp8 v[184:187], a[64:65], v[128:129], 0// 00000001A440: D3F300B8 0A030140
	v_mfma_f32_16x16x32_fp8_fp8 v[184:187], a[66:67], v[130:131], v[184:187]// 00000001A448: D3F300B8 0EE30542
	v_mfma_f32_16x16x32_fp8_fp8 v[184:187], a[68:69], v[132:133], v[184:187]// 00000001A450: D3F300B8 0EE30944
	v_mfma_f32_16x16x32_fp8_fp8 v[184:187], a[70:71], v[134:135], v[184:187]// 00000001A458: D3F300B8 0EE30D46
	v_mfma_f32_16x16x32_fp8_fp8 v[184:187], a[72:73], v[136:137], v[184:187]// 00000001A460: D3F300B8 0EE31148
	v_mfma_f32_16x16x32_fp8_fp8 v[184:187], a[74:75], v[138:139], v[184:187]// 00000001A468: D3F300B8 0EE3154A
	v_mfma_f32_16x16x32_fp8_fp8 v[184:187], a[76:77], v[140:141], v[184:187]// 00000001A470: D3F300B8 0EE3194C
	v_mfma_f32_16x16x32_fp8_fp8 v[184:187], a[78:79], v[142:143], v[184:187]// 00000001A478: D3F300B8 0EE31D4E
	v_mfma_f32_16x16x32_fp8_fp8 v[188:191], a[80:81], v[128:129], 0// 00000001A480: D3F300BC 0A030150
	v_mfma_f32_16x16x32_fp8_fp8 v[188:191], a[82:83], v[130:131], v[188:191]// 00000001A488: D3F300BC 0EF30552
	v_mfma_f32_16x16x32_fp8_fp8 v[188:191], a[84:85], v[132:133], v[188:191]// 00000001A490: D3F300BC 0EF30954
	v_mfma_f32_16x16x32_fp8_fp8 v[188:191], a[86:87], v[134:135], v[188:191]// 00000001A498: D3F300BC 0EF30D56
	v_mfma_f32_16x16x32_fp8_fp8 v[188:191], a[88:89], v[136:137], v[188:191]// 00000001A4A0: D3F300BC 0EF31158
	v_mfma_f32_16x16x32_fp8_fp8 v[188:191], a[90:91], v[138:139], v[188:191]// 00000001A4A8: D3F300BC 0EF3155A
	v_mfma_f32_16x16x32_fp8_fp8 v[188:191], a[92:93], v[140:141], v[188:191]// 00000001A4B0: D3F300BC 0EF3195C
	v_mfma_f32_16x16x32_fp8_fp8 v[188:191], a[94:95], v[142:143], v[188:191]// 00000001A4B8: D3F300BC 0EF31D5E
	v_mfma_f32_16x16x32_fp8_fp8 v[192:195], a[64:65], v[144:145], 0// 00000001A4C0: D3F300C0 0A032140
	v_mfma_f32_16x16x32_fp8_fp8 v[192:195], a[66:67], v[146:147], v[192:195]// 00000001A4C8: D3F300C0 0F032542
	v_mfma_f32_16x16x32_fp8_fp8 v[192:195], a[68:69], v[148:149], v[192:195]// 00000001A4D0: D3F300C0 0F032944
	v_mfma_f32_16x16x32_fp8_fp8 v[192:195], a[70:71], v[150:151], v[192:195]// 00000001A4D8: D3F300C0 0F032D46
	v_mfma_f32_16x16x32_fp8_fp8 v[192:195], a[72:73], v[152:153], v[192:195]// 00000001A4E0: D3F300C0 0F033148
	v_mfma_f32_16x16x32_fp8_fp8 v[192:195], a[74:75], v[154:155], v[192:195]// 00000001A4E8: D3F300C0 0F03354A
	v_mfma_f32_16x16x32_fp8_fp8 v[192:195], a[76:77], v[156:157], v[192:195]// 00000001A4F0: D3F300C0 0F03394C
	v_mfma_f32_16x16x32_fp8_fp8 v[192:195], a[78:79], v[158:159], v[192:195]// 00000001A4F8: D3F300C0 0F033D4E
	v_mfma_f32_16x16x32_fp8_fp8 v[196:199], a[80:81], v[144:145], 0// 00000001A500: D3F300C4 0A032150
	v_mfma_f32_16x16x32_fp8_fp8 v[196:199], a[82:83], v[146:147], v[196:199]// 00000001A508: D3F300C4 0F132552
	v_mfma_f32_16x16x32_fp8_fp8 v[196:199], a[84:85], v[148:149], v[196:199]// 00000001A510: D3F300C4 0F132954
	v_mfma_f32_16x16x32_fp8_fp8 v[196:199], a[86:87], v[150:151], v[196:199]// 00000001A518: D3F300C4 0F132D56
	v_mfma_f32_16x16x32_fp8_fp8 v[196:199], a[88:89], v[152:153], v[196:199]// 00000001A520: D3F300C4 0F133158
	v_mfma_f32_16x16x32_fp8_fp8 v[196:199], a[90:91], v[154:155], v[196:199]// 00000001A528: D3F300C4 0F13355A
	v_mfma_f32_16x16x32_fp8_fp8 v[196:199], a[92:93], v[156:157], v[196:199]// 00000001A530: D3F300C4 0F13395C
	v_mfma_f32_16x16x32_fp8_fp8 v[196:199], a[94:95], v[158:159], v[196:199]// 00000001A538: D3F300C4 0F133D5E
	s_nop 4                                                    // 00000001A540: BF800004
	s_branch label_696A                                        // 00000001A544: BF820898

000000000001a548 <label_60D2>:
	s_waitcnt vmcnt(8) lgkmcnt(0)                              // 00000001A548: BF8C0078
	s_barrier                                                  // 00000001A54C: BF8A0000
	v_mfma_f32_16x16x32_fp8_fp8 v[112:115], a[32:33], v[80:81], 0// 00000001A550: D3F30070 0A02A120
	v_mfma_f32_16x16x32_fp8_fp8 v[112:115], a[34:35], v[82:83], v[112:115]// 00000001A558: D3F30070 0DC2A522
	v_mfma_f32_16x16x32_fp8_fp8 v[112:115], a[36:37], v[84:85], v[112:115]// 00000001A560: D3F30070 0DC2A924
	v_mfma_f32_16x16x32_fp8_fp8 v[112:115], a[38:39], v[86:87], v[112:115]// 00000001A568: D3F30070 0DC2AD26
	v_mfma_f32_16x16x32_fp8_fp8 v[116:119], a[40:41], v[80:81], 0// 00000001A570: D3F30074 0A02A128
	v_mfma_f32_16x16x32_fp8_fp8 v[116:119], a[42:43], v[82:83], v[116:119]// 00000001A578: D3F30074 0DD2A52A
	v_mfma_f32_16x16x32_fp8_fp8 v[116:119], a[44:45], v[84:85], v[116:119]// 00000001A580: D3F30074 0DD2A92C
	v_mfma_f32_16x16x32_fp8_fp8 v[116:119], a[46:47], v[86:87], v[116:119]// 00000001A588: D3F30074 0DD2AD2E
	v_mfma_f32_16x16x32_fp8_fp8 v[120:123], a[48:49], v[80:81], 0// 00000001A590: D3F30078 0A02A130
	v_mfma_f32_16x16x32_fp8_fp8 v[120:123], a[50:51], v[82:83], v[120:123]// 00000001A598: D3F30078 0DE2A532
	v_mfma_f32_16x16x32_fp8_fp8 v[120:123], a[52:53], v[84:85], v[120:123]// 00000001A5A0: D3F30078 0DE2A934
	v_mfma_f32_16x16x32_fp8_fp8 v[120:123], a[54:55], v[86:87], v[120:123]// 00000001A5A8: D3F30078 0DE2AD36
	v_mfma_f32_16x16x32_fp8_fp8 v[124:127], a[56:57], v[80:81], 0// 00000001A5B0: D3F3007C 0A02A138
	v_mfma_f32_16x16x32_fp8_fp8 v[124:127], a[58:59], v[82:83], v[124:127]// 00000001A5B8: D3F3007C 0DF2A53A
	v_mfma_f32_16x16x32_fp8_fp8 v[124:127], a[60:61], v[84:85], v[124:127]// 00000001A5C0: D3F3007C 0DF2A93C
	v_mfma_f32_16x16x32_fp8_fp8 v[124:127], a[62:63], v[86:87], v[124:127]// 00000001A5C8: D3F3007C 0DF2AD3E
	v_mfma_f32_16x16x32_fp8_fp8 v[128:131], a[32:33], v[88:89], 0// 00000001A5D0: D3F30080 0A02B120
	v_mfma_f32_16x16x32_fp8_fp8 v[128:131], a[34:35], v[90:91], v[128:131]// 00000001A5D8: D3F30080 0E02B522
	v_mfma_f32_16x16x32_fp8_fp8 v[128:131], a[36:37], v[92:93], v[128:131]// 00000001A5E0: D3F30080 0E02B924
	v_mfma_f32_16x16x32_fp8_fp8 v[128:131], a[38:39], v[94:95], v[128:131]// 00000001A5E8: D3F30080 0E02BD26
	v_mfma_f32_16x16x32_fp8_fp8 v[132:135], a[40:41], v[88:89], 0// 00000001A5F0: D3F30084 0A02B128
	v_mfma_f32_16x16x32_fp8_fp8 v[132:135], a[42:43], v[90:91], v[132:135]// 00000001A5F8: D3F30084 0E12B52A
	v_mfma_f32_16x16x32_fp8_fp8 v[132:135], a[44:45], v[92:93], v[132:135]// 00000001A600: D3F30084 0E12B92C
	v_mfma_f32_16x16x32_fp8_fp8 v[132:135], a[46:47], v[94:95], v[132:135]// 00000001A608: D3F30084 0E12BD2E
	v_mfma_f32_16x16x32_fp8_fp8 v[136:139], a[48:49], v[88:89], 0// 00000001A610: D3F30088 0A02B130
	v_mfma_f32_16x16x32_fp8_fp8 v[136:139], a[50:51], v[90:91], v[136:139]// 00000001A618: D3F30088 0E22B532
	v_mfma_f32_16x16x32_fp8_fp8 v[136:139], a[52:53], v[92:93], v[136:139]// 00000001A620: D3F30088 0E22B934
	v_mfma_f32_16x16x32_fp8_fp8 v[136:139], a[54:55], v[94:95], v[136:139]// 00000001A628: D3F30088 0E22BD36
	v_mfma_f32_16x16x32_fp8_fp8 v[140:143], a[56:57], v[88:89], 0// 00000001A630: D3F3008C 0A02B138
	v_mfma_f32_16x16x32_fp8_fp8 v[140:143], a[58:59], v[90:91], v[140:143]// 00000001A638: D3F3008C 0E32B53A
	v_mfma_f32_16x16x32_fp8_fp8 v[140:143], a[60:61], v[92:93], v[140:143]// 00000001A640: D3F3008C 0E32B93C
	v_mfma_f32_16x16x32_fp8_fp8 v[140:143], a[62:63], v[94:95], v[140:143]// 00000001A648: D3F3008C 0E32BD3E
	v_mfma_f32_16x16x32_fp8_fp8 v[144:147], a[32:33], v[96:97], 0// 00000001A650: D3F30090 0A02C120
	v_mfma_f32_16x16x32_fp8_fp8 v[144:147], a[34:35], v[98:99], v[144:147]// 00000001A658: D3F30090 0E42C522
	v_mfma_f32_16x16x32_fp8_fp8 v[144:147], a[36:37], v[100:101], v[144:147]// 00000001A660: D3F30090 0E42C924
	v_mfma_f32_16x16x32_fp8_fp8 v[144:147], a[38:39], v[102:103], v[144:147]// 00000001A668: D3F30090 0E42CD26
	v_mfma_f32_16x16x32_fp8_fp8 v[148:151], a[40:41], v[96:97], 0// 00000001A670: D3F30094 0A02C128
	v_mfma_f32_16x16x32_fp8_fp8 v[148:151], a[42:43], v[98:99], v[148:151]// 00000001A678: D3F30094 0E52C52A
	v_mfma_f32_16x16x32_fp8_fp8 v[148:151], a[44:45], v[100:101], v[148:151]// 00000001A680: D3F30094 0E52C92C
	v_mfma_f32_16x16x32_fp8_fp8 v[148:151], a[46:47], v[102:103], v[148:151]// 00000001A688: D3F30094 0E52CD2E
	v_mfma_f32_16x16x32_fp8_fp8 v[152:155], a[48:49], v[96:97], 0// 00000001A690: D3F30098 0A02C130
	v_mfma_f32_16x16x32_fp8_fp8 v[152:155], a[50:51], v[98:99], v[152:155]// 00000001A698: D3F30098 0E62C532
	v_mfma_f32_16x16x32_fp8_fp8 v[152:155], a[52:53], v[100:101], v[152:155]// 00000001A6A0: D3F30098 0E62C934
	v_mfma_f32_16x16x32_fp8_fp8 v[152:155], a[54:55], v[102:103], v[152:155]// 00000001A6A8: D3F30098 0E62CD36
	v_mfma_f32_16x16x32_fp8_fp8 v[156:159], a[56:57], v[96:97], 0// 00000001A6B0: D3F3009C 0A02C138
	v_mfma_f32_16x16x32_fp8_fp8 v[156:159], a[58:59], v[98:99], v[156:159]// 00000001A6B8: D3F3009C 0E72C53A
	v_mfma_f32_16x16x32_fp8_fp8 v[156:159], a[60:61], v[100:101], v[156:159]// 00000001A6C0: D3F3009C 0E72C93C
	v_mfma_f32_16x16x32_fp8_fp8 v[156:159], a[62:63], v[102:103], v[156:159]// 00000001A6C8: D3F3009C 0E72CD3E
	v_mov_b32_dpp v64, v43 row_shr:4 row_mask:0xf bank_mask:0xf// 00000001A6D0: 7E8002FA FF01142B
	v_mov_b32_dpp v65, v43 row_shl:4 row_mask:0xf bank_mask:0xf// 00000001A6D8: 7E8202FA FF01042B
	v_cndmask_b32_e64 v248, v43, v64, s[44:45]                 // 00000001A6E0: D10000F8 00B2812B
	v_cndmask_b32_e64 v249, v65, v43, s[44:45]                 // 00000001A6E8: D10000F9 00B25741
	v_mov_b32_dpp v64, v248 row_shr:8 row_mask:0xf bank_mask:0xf// 00000001A6F0: 7E8002FA FF0118F8
	v_mov_b32_dpp v65, v248 row_shl:8 row_mask:0xf bank_mask:0xf// 00000001A6F8: 7E8202FA FF0108F8
	v_mov_b32_dpp v66, v249 row_shr:8 row_mask:0xf bank_mask:0xf// 00000001A700: 7E8402FA FF0118F9
	v_mov_b32_dpp v67, v249 row_shl:8 row_mask:0xf bank_mask:0xf// 00000001A708: 7E8602FA FF0108F9
	v_mov_b32_e32 v68, v248                                    // 00000001A710: 7E8803F8
	v_mov_b32_e32 v69, v249                                    // 00000001A714: 7E8A03F9
	v_cndmask_b32_e64 v248, v68, v64, s[42:43]                 // 00000001A718: D10000F8 00AA8144
	v_cndmask_b32_e64 v250, v68, v65, s[78:79]                 // 00000001A720: D10000FA 013A8344
	v_cndmask_b32_e64 v249, v69, v66, s[42:43]                 // 00000001A728: D10000F9 00AA8545
	v_cndmask_b32_e64 v251, v69, v67, s[78:79]                 // 00000001A730: D10000FB 013A8745
	v_mov_b32_dpp v64, v58 row_shr:4 row_mask:0xf bank_mask:0xf// 00000001A738: 7E8002FA FF01143A
	v_mov_b32_dpp v65, v58 row_shl:4 row_mask:0xf bank_mask:0xf// 00000001A740: 7E8202FA FF01043A
	v_cndmask_b32_e64 v252, v58, v64, s[44:45]                 // 00000001A748: D10000FC 00B2813A
	v_cndmask_b32_e64 v253, v65, v58, s[44:45]                 // 00000001A750: D10000FD 00B27541
	v_mov_b32_dpp v64, v252 row_shr:8 row_mask:0xf bank_mask:0xf// 00000001A758: 7E8002FA FF0118FC
	v_mov_b32_dpp v65, v252 row_shl:8 row_mask:0xf bank_mask:0xf// 00000001A760: 7E8202FA FF0108FC
	v_mov_b32_dpp v66, v253 row_shr:8 row_mask:0xf bank_mask:0xf// 00000001A768: 7E8402FA FF0118FD
	v_mov_b32_dpp v67, v253 row_shl:8 row_mask:0xf bank_mask:0xf// 00000001A770: 7E8602FA FF0108FD
	v_mov_b32_e32 v68, v252                                    // 00000001A778: 7E8803FC
	v_mov_b32_e32 v69, v253                                    // 00000001A77C: 7E8A03FD
	v_cndmask_b32_e64 v252, v68, v64, s[42:43]                 // 00000001A780: D10000FC 00AA8144
	v_cndmask_b32_e64 v254, v68, v65, s[78:79]                 // 00000001A788: D10000FE 013A8344
	v_cndmask_b32_e64 v253, v69, v66, s[42:43]                 // 00000001A790: D10000FD 00AA8545
	v_cndmask_b32_e64 v255, v69, v67, s[78:79]                 // 00000001A798: D10000FF 013A8745
	v_mul_f32_e32 v112, v18, v112                              // 00000001A7A0: 0AE0E112
	v_mul_f32_e32 v113, v18, v113                              // 00000001A7A4: 0AE2E312
	v_mul_f32_e32 v114, v18, v114                              // 00000001A7A8: 0AE4E512
	v_mul_f32_e32 v115, v18, v115                              // 00000001A7AC: 0AE6E712
	v_mul_f32_e32 v116, v18, v116                              // 00000001A7B0: 0AE8E912
	v_mul_f32_e32 v117, v18, v117                              // 00000001A7B4: 0AEAEB12
	v_mul_f32_e32 v118, v18, v118                              // 00000001A7B8: 0AECED12
	v_mul_f32_e32 v119, v18, v119                              // 00000001A7BC: 0AEEEF12
	v_mul_f32_e32 v120, v18, v120                              // 00000001A7C0: 0AF0F112
	v_mul_f32_e32 v121, v18, v121                              // 00000001A7C4: 0AF2F312
	v_mul_f32_e32 v122, v18, v122                              // 00000001A7C8: 0AF4F512
	v_mul_f32_e32 v123, v18, v123                              // 00000001A7CC: 0AF6F712
	v_mul_f32_e32 v124, v18, v124                              // 00000001A7D0: 0AF8F912
	v_mul_f32_e32 v125, v18, v125                              // 00000001A7D4: 0AFAFB12
	v_mul_f32_e32 v126, v18, v126                              // 00000001A7D8: 0AFCFD12
	v_mul_f32_e32 v127, v18, v127                              // 00000001A7DC: 0AFEFF12
	v_mul_f32_dpp v112, v248, v112 quad_perm:[0,0,0,0] row_mask:0xf bank_mask:0xf// 00000001A7E0: 0AE0E0FA FF0000F8
	v_mul_f32_dpp v113, v248, v113 quad_perm:[1,1,1,1] row_mask:0xf bank_mask:0xf// 00000001A7E8: 0AE2E2FA FF0055F8
	v_mul_f32_dpp v114, v248, v114 quad_perm:[2,2,2,2] row_mask:0xf bank_mask:0xf// 00000001A7F0: 0AE4E4FA FF00AAF8
	v_mul_f32_dpp v115, v248, v115 quad_perm:[3,3,3,3] row_mask:0xf bank_mask:0xf// 00000001A7F8: 0AE6E6FA FF00FFF8
	v_mul_f32_dpp v116, v249, v116 quad_perm:[0,0,0,0] row_mask:0xf bank_mask:0xf// 00000001A800: 0AE8E8FA FF0000F9
	v_mul_f32_dpp v117, v249, v117 quad_perm:[1,1,1,1] row_mask:0xf bank_mask:0xf// 00000001A808: 0AEAEAFA FF0055F9
	v_mul_f32_dpp v118, v249, v118 quad_perm:[2,2,2,2] row_mask:0xf bank_mask:0xf// 00000001A810: 0AECECFA FF00AAF9
	v_mul_f32_dpp v119, v249, v119 quad_perm:[3,3,3,3] row_mask:0xf bank_mask:0xf// 00000001A818: 0AEEEEFA FF00FFF9
	v_mul_f32_dpp v120, v250, v120 quad_perm:[0,0,0,0] row_mask:0xf bank_mask:0xf// 00000001A820: 0AF0F0FA FF0000FA
	v_mul_f32_dpp v121, v250, v121 quad_perm:[1,1,1,1] row_mask:0xf bank_mask:0xf// 00000001A828: 0AF2F2FA FF0055FA
	v_mul_f32_dpp v122, v250, v122 quad_perm:[2,2,2,2] row_mask:0xf bank_mask:0xf// 00000001A830: 0AF4F4FA FF00AAFA
	v_mul_f32_dpp v123, v250, v123 quad_perm:[3,3,3,3] row_mask:0xf bank_mask:0xf// 00000001A838: 0AF6F6FA FF00FFFA
	v_mul_f32_dpp v124, v251, v124 quad_perm:[0,0,0,0] row_mask:0xf bank_mask:0xf// 00000001A840: 0AF8F8FA FF0000FB
	v_mul_f32_dpp v125, v251, v125 quad_perm:[1,1,1,1] row_mask:0xf bank_mask:0xf// 00000001A848: 0AFAFAFA FF0055FB
	v_mul_f32_dpp v126, v251, v126 quad_perm:[2,2,2,2] row_mask:0xf bank_mask:0xf// 00000001A850: 0AFCFCFA FF00AAFB
	v_mul_f32_dpp v127, v251, v127 quad_perm:[3,3,3,3] row_mask:0xf bank_mask:0xf// 00000001A858: 0AFEFEFA FF00FFFB
	s_cmp_le_i32 s90, s89                                      // 00000001A860: BF05595A
	s_cbranch_scc1 label_620B                                  // 00000001A864: BF850071
	v_mov_b32_e32 v66, 0xff800000                              // 00000001A868: 7E8402FF FF800000
	s_mov_b32 s60, s90                                         // 00000001A870: BEBC005A
	s_add_u32 s61, s89, 0xff                                   // 00000001A874: 803DFF59 000000FF
	v_mov_b32_e32 v64, s61                                     // 00000001A87C: 7E80023D
	v_lshrrev_b32_e32 v240, 4, v0                              // 00000001A880: 21E00084
	v_mul_i32_i24_e32 v240, 4, v240                            // 00000001A884: 0DE1E084
	v_add_u32_e32 v240, s60, v240                              // 00000001A888: 69E1E03C
	s_mov_b32 s61, 0                                           // 00000001A88C: BEBD0080
	s_mul_i32 s60, 16, s7                                      // 00000001A890: 923C0790
	v_sub_u32_e64 v240, v240, s61                              // 00000001A894: D13500F0 00007BF0
	v_add_u32_e32 v240, s60, v240                              // 00000001A89C: 69E1E03C
	v_add_u32_e32 v241, 1, v240                                // 00000001A8A0: 69E3E081
	v_add_u32_e32 v242, 2, v240                                // 00000001A8A4: 69E5E082
	v_add_u32_e32 v243, 3, v240                                // 00000001A8A8: 69E7E083
	v_cmp_le_u32_e64 s[40:41], v240, v64                       // 00000001A8AC: D0CB0028 000281F0
	v_add_u32_e32 v240, 64, v240                               // 00000001A8B4: 69E1E0C0
	s_nop 0                                                    // 00000001A8B8: BF800000
	v_cndmask_b32_e64 v112, v66, v112, s[40:41]                // 00000001A8BC: D1000070 00A2E142
	v_cmp_le_u32_e64 s[40:41], v241, v64                       // 00000001A8C4: D0CB0028 000281F1
	v_add_u32_e32 v241, 64, v241                               // 00000001A8CC: 69E3E2C0
	s_nop 0                                                    // 00000001A8D0: BF800000
	v_cndmask_b32_e64 v113, v66, v113, s[40:41]                // 00000001A8D4: D1000071 00A2E342
	v_cmp_le_u32_e64 s[40:41], v242, v64                       // 00000001A8DC: D0CB0028 000281F2
	v_add_u32_e32 v242, 64, v242                               // 00000001A8E4: 69E5E4C0
	s_nop 0                                                    // 00000001A8E8: BF800000
	v_cndmask_b32_e64 v114, v66, v114, s[40:41]                // 00000001A8EC: D1000072 00A2E542
	v_cmp_le_u32_e64 s[40:41], v243, v64                       // 00000001A8F4: D0CB0028 000281F3
	v_add_u32_e32 v243, 64, v243                               // 00000001A8FC: 69E7E6C0
	s_nop 0                                                    // 00000001A900: BF800000
	v_cndmask_b32_e64 v115, v66, v115, s[40:41]                // 00000001A904: D1000073 00A2E742
	v_cmp_le_u32_e64 s[40:41], v240, v64                       // 00000001A90C: D0CB0028 000281F0
	v_add_u32_e32 v240, 64, v240                               // 00000001A914: 69E1E0C0
	s_nop 0                                                    // 00000001A918: BF800000
	v_cndmask_b32_e64 v116, v66, v116, s[40:41]                // 00000001A91C: D1000074 00A2E942
	v_cmp_le_u32_e64 s[40:41], v241, v64                       // 00000001A924: D0CB0028 000281F1
	v_add_u32_e32 v241, 64, v241                               // 00000001A92C: 69E3E2C0
	s_nop 0                                                    // 00000001A930: BF800000
	v_cndmask_b32_e64 v117, v66, v117, s[40:41]                // 00000001A934: D1000075 00A2EB42
	v_cmp_le_u32_e64 s[40:41], v242, v64                       // 00000001A93C: D0CB0028 000281F2
	v_add_u32_e32 v242, 64, v242                               // 00000001A944: 69E5E4C0
	s_nop 0                                                    // 00000001A948: BF800000
	v_cndmask_b32_e64 v118, v66, v118, s[40:41]                // 00000001A94C: D1000076 00A2ED42
	v_cmp_le_u32_e64 s[40:41], v243, v64                       // 00000001A954: D0CB0028 000281F3
	v_add_u32_e32 v243, 64, v243                               // 00000001A95C: 69E7E6C0
	s_nop 0                                                    // 00000001A960: BF800000
	v_cndmask_b32_e64 v119, v66, v119, s[40:41]                // 00000001A964: D1000077 00A2EF42
	v_cmp_le_u32_e64 s[40:41], v240, v64                       // 00000001A96C: D0CB0028 000281F0
	v_add_u32_e32 v240, 64, v240                               // 00000001A974: 69E1E0C0
	s_nop 0                                                    // 00000001A978: BF800000
	v_cndmask_b32_e64 v120, v66, v120, s[40:41]                // 00000001A97C: D1000078 00A2F142
	v_cmp_le_u32_e64 s[40:41], v241, v64                       // 00000001A984: D0CB0028 000281F1
	v_add_u32_e32 v241, 64, v241                               // 00000001A98C: 69E3E2C0
	s_nop 0                                                    // 00000001A990: BF800000
	v_cndmask_b32_e64 v121, v66, v121, s[40:41]                // 00000001A994: D1000079 00A2F342
	v_cmp_le_u32_e64 s[40:41], v242, v64                       // 00000001A99C: D0CB0028 000281F2
	v_add_u32_e32 v242, 64, v242                               // 00000001A9A4: 69E5E4C0
	s_nop 0                                                    // 00000001A9A8: BF800000
	v_cndmask_b32_e64 v122, v66, v122, s[40:41]                // 00000001A9AC: D100007A 00A2F542
	v_cmp_le_u32_e64 s[40:41], v243, v64                       // 00000001A9B4: D0CB0028 000281F3
	v_add_u32_e32 v243, 64, v243                               // 00000001A9BC: 69E7E6C0
	s_nop 0                                                    // 00000001A9C0: BF800000
	v_cndmask_b32_e64 v123, v66, v123, s[40:41]                // 00000001A9C4: D100007B 00A2F742
	v_cmp_le_u32_e64 s[40:41], v240, v64                       // 00000001A9CC: D0CB0028 000281F0
	v_add_u32_e32 v240, 64, v240                               // 00000001A9D4: 69E1E0C0
	s_nop 0                                                    // 00000001A9D8: BF800000
	v_cndmask_b32_e64 v124, v66, v124, s[40:41]                // 00000001A9DC: D100007C 00A2F942
	v_cmp_le_u32_e64 s[40:41], v241, v64                       // 00000001A9E4: D0CB0028 000281F1
	v_add_u32_e32 v241, 64, v241                               // 00000001A9EC: 69E3E2C0
	s_nop 0                                                    // 00000001A9F0: BF800000
	v_cndmask_b32_e64 v125, v66, v125, s[40:41]                // 00000001A9F4: D100007D 00A2FB42
	v_cmp_le_u32_e64 s[40:41], v242, v64                       // 00000001A9FC: D0CB0028 000281F2
	v_add_u32_e32 v242, 64, v242                               // 00000001AA04: 69E5E4C0
	s_nop 0                                                    // 00000001AA08: BF800000
	v_cndmask_b32_e64 v126, v66, v126, s[40:41]                // 00000001AA0C: D100007E 00A2FD42
	v_cmp_le_u32_e64 s[40:41], v243, v64                       // 00000001AA14: D0CB0028 000281F3
	v_add_u32_e32 v243, 64, v243                               // 00000001AA1C: 69E7E6C0
	s_nop 0                                                    // 00000001AA20: BF800000
	v_cndmask_b32_e64 v127, v66, v127, s[40:41]                // 00000001AA24: D100007F 00A2FF42

000000000001aa2c <label_620B>:
	s_and_b32 s60, s72, 0xff                                   // 00000001AA2C: 863CFF48 000000FF
	v_mov_b32_e32 v65, s60                                     // 00000001AA34: 7E82023C
	v_lshrrev_b32_e32 v240, 4, v0                              // 00000001AA38: 21E00084
	v_mul_i32_i24_e32 v240, 4, v240                            // 00000001AA3C: 0DE1E084
	s_mul_i32 s60, s7, 16                                      // 00000001AA40: 923C9007
	v_add_u32_e32 v240, s60, v240                              // 00000001AA44: 69E1E03C
	v_add_u32_e32 v241, 1, v240                                // 00000001AA48: 69E3E081
	v_add_u32_e32 v242, 2, v240                                // 00000001AA4C: 69E5E082
	v_add_u32_e32 v243, 3, v240                                // 00000001AA50: 69E7E083
	v_mov_b32_e32 v64, 0xff800000                              // 00000001AA54: 7E8002FF FF800000
	v_cmp_lt_u32_e64 s[40:41], v240, v65                       // 00000001AA5C: D0C90028 000283F0
	v_add_u32_e32 v240, 64, v240                               // 00000001AA64: 69E1E0C0
	s_nop 0                                                    // 00000001AA68: BF800000
	v_cndmask_b32_e64 v112, v64, v112, s[40:41]                // 00000001AA6C: D1000070 00A2E140
	v_cmp_lt_u32_e64 s[40:41], v241, v65                       // 00000001AA74: D0C90028 000283F1
	v_add_u32_e32 v241, 64, v241                               // 00000001AA7C: 69E3E2C0
	s_nop 0                                                    // 00000001AA80: BF800000
	v_cndmask_b32_e64 v113, v64, v113, s[40:41]                // 00000001AA84: D1000071 00A2E340
	v_cmp_lt_u32_e64 s[40:41], v242, v65                       // 00000001AA8C: D0C90028 000283F2
	v_add_u32_e32 v242, 64, v242                               // 00000001AA94: 69E5E4C0
	s_nop 0                                                    // 00000001AA98: BF800000
	v_cndmask_b32_e64 v114, v64, v114, s[40:41]                // 00000001AA9C: D1000072 00A2E540
	v_cmp_lt_u32_e64 s[40:41], v243, v65                       // 00000001AAA4: D0C90028 000283F3
	v_add_u32_e32 v243, 64, v243                               // 00000001AAAC: 69E7E6C0
	s_nop 0                                                    // 00000001AAB0: BF800000
	v_cndmask_b32_e64 v115, v64, v115, s[40:41]                // 00000001AAB4: D1000073 00A2E740
	v_cmp_lt_u32_e64 s[40:41], v240, v65                       // 00000001AABC: D0C90028 000283F0
	v_add_u32_e32 v240, 64, v240                               // 00000001AAC4: 69E1E0C0
	s_nop 0                                                    // 00000001AAC8: BF800000
	v_cndmask_b32_e64 v116, v64, v116, s[40:41]                // 00000001AACC: D1000074 00A2E940
	v_cmp_lt_u32_e64 s[40:41], v241, v65                       // 00000001AAD4: D0C90028 000283F1
	v_add_u32_e32 v241, 64, v241                               // 00000001AADC: 69E3E2C0
	s_nop 0                                                    // 00000001AAE0: BF800000
	v_cndmask_b32_e64 v117, v64, v117, s[40:41]                // 00000001AAE4: D1000075 00A2EB40
	v_cmp_lt_u32_e64 s[40:41], v242, v65                       // 00000001AAEC: D0C90028 000283F2
	v_add_u32_e32 v242, 64, v242                               // 00000001AAF4: 69E5E4C0
	s_nop 0                                                    // 00000001AAF8: BF800000
	v_cndmask_b32_e64 v118, v64, v118, s[40:41]                // 00000001AAFC: D1000076 00A2ED40
	v_cmp_lt_u32_e64 s[40:41], v243, v65                       // 00000001AB04: D0C90028 000283F3
	v_add_u32_e32 v243, 64, v243                               // 00000001AB0C: 69E7E6C0
	s_nop 0                                                    // 00000001AB10: BF800000
	v_cndmask_b32_e64 v119, v64, v119, s[40:41]                // 00000001AB14: D1000077 00A2EF40
	v_cmp_lt_u32_e64 s[40:41], v240, v65                       // 00000001AB1C: D0C90028 000283F0
	v_add_u32_e32 v240, 64, v240                               // 00000001AB24: 69E1E0C0
	s_nop 0                                                    // 00000001AB28: BF800000
	v_cndmask_b32_e64 v120, v64, v120, s[40:41]                // 00000001AB2C: D1000078 00A2F140
	v_cmp_lt_u32_e64 s[40:41], v241, v65                       // 00000001AB34: D0C90028 000283F1
	v_add_u32_e32 v241, 64, v241                               // 00000001AB3C: 69E3E2C0
	s_nop 0                                                    // 00000001AB40: BF800000
	v_cndmask_b32_e64 v121, v64, v121, s[40:41]                // 00000001AB44: D1000079 00A2F340
	v_cmp_lt_u32_e64 s[40:41], v242, v65                       // 00000001AB4C: D0C90028 000283F2
	v_add_u32_e32 v242, 64, v242                               // 00000001AB54: 69E5E4C0
	s_nop 0                                                    // 00000001AB58: BF800000
	v_cndmask_b32_e64 v122, v64, v122, s[40:41]                // 00000001AB5C: D100007A 00A2F540
	v_cmp_lt_u32_e64 s[40:41], v243, v65                       // 00000001AB64: D0C90028 000283F3
	v_add_u32_e32 v243, 64, v243                               // 00000001AB6C: 69E7E6C0
	s_nop 0                                                    // 00000001AB70: BF800000
	v_cndmask_b32_e64 v123, v64, v123, s[40:41]                // 00000001AB74: D100007B 00A2F740
	v_cmp_lt_u32_e64 s[40:41], v240, v65                       // 00000001AB7C: D0C90028 000283F0
	v_add_u32_e32 v240, 64, v240                               // 00000001AB84: 69E1E0C0
	s_nop 0                                                    // 00000001AB88: BF800000
	v_cndmask_b32_e64 v124, v64, v124, s[40:41]                // 00000001AB8C: D100007C 00A2F940
	v_cmp_lt_u32_e64 s[40:41], v241, v65                       // 00000001AB94: D0C90028 000283F1
	v_add_u32_e32 v241, 64, v241                               // 00000001AB9C: 69E3E2C0
	s_nop 0                                                    // 00000001ABA0: BF800000
	v_cndmask_b32_e64 v125, v64, v125, s[40:41]                // 00000001ABA4: D100007D 00A2FB40
	v_cmp_lt_u32_e64 s[40:41], v242, v65                       // 00000001ABAC: D0C90028 000283F2
	v_add_u32_e32 v242, 64, v242                               // 00000001ABB4: 69E5E4C0
	s_nop 0                                                    // 00000001ABB8: BF800000
	v_cndmask_b32_e64 v126, v64, v126, s[40:41]                // 00000001ABBC: D100007E 00A2FD40
	v_cmp_lt_u32_e64 s[40:41], v243, v65                       // 00000001ABC4: D0C90028 000283F3
	v_add_u32_e32 v243, 64, v243                               // 00000001ABCC: 69E7E6C0
	s_nop 0                                                    // 00000001ABD0: BF800000
	v_cndmask_b32_e64 v127, v64, v127, s[40:41]                // 00000001ABD4: D100007F 00A2FF40
	v_mov_b32_e32 v48, v112                                    // 00000001ABDC: 7E600370
	v_max3_f32 v48, v112, v113, v48                            // 00000001ABE0: D1D30030 04C2E370
	v_max3_f32 v48, v114, v115, v48                            // 00000001ABE8: D1D30030 04C2E772
	v_max3_f32 v48, v116, v117, v48                            // 00000001ABF0: D1D30030 04C2EB74
	v_max3_f32 v48, v118, v119, v48                            // 00000001ABF8: D1D30030 04C2EF76
	v_max3_f32 v48, v120, v121, v48                            // 00000001AC00: D1D30030 04C2F378
	v_max3_f32 v48, v122, v123, v48                            // 00000001AC08: D1D30030 04C2F77A
	v_max3_f32 v48, v124, v125, v48                            // 00000001AC10: D1D30030 04C2FB7C
	v_max3_f32 v48, v126, v127, v48                            // 00000001AC18: D1D30030 04C2FF7E
	ds_write_b32 v8, v48 offset:16896                          // 00000001AC20: D81A4200 00003008
	v_mul_u32_u24_dpp v64, v16, v54 row_newbcast:1 row_mask:0xf bank_mask:0xf// 00000001AC28: 10806CFA FF015110
	v_mul_u32_u24_dpp v65, v16, v54 row_newbcast:5 row_mask:0xf bank_mask:0xf// 00000001AC30: 10826CFA FF015510
	v_mul_u32_u24_dpp v66, v16, v54 row_newbcast:9 row_mask:0xf bank_mask:0xf// 00000001AC38: 10846CFA FF015910
	v_mul_u32_u24_dpp v67, v16, v54 row_newbcast:13 row_mask:0xf bank_mask:0xf// 00000001AC40: 10866CFA FF015D10
	v_add_u32_e32 v30, v64, v6                                 // 00000001AC48: 683C0D40
	v_add_u32_e32 v31, v65, v6                                 // 00000001AC4C: 683E0D41
	v_add_u32_e32 v32, v66, v6                                 // 00000001AC50: 68400D42
	v_add_u32_e32 v33, v67, v6                                 // 00000001AC54: 68420D43
	v_mul_f32_e32 v208, v49, v208                              // 00000001AC58: 0BA1A131
	v_mul_f32_e32 v209, v49, v209                              // 00000001AC5C: 0BA3A331
	v_mul_f32_e32 v210, v49, v210                              // 00000001AC60: 0BA5A531
	v_mul_f32_e32 v211, v49, v211                              // 00000001AC64: 0BA7A731
	v_mul_f32_e32 v212, v49, v212                              // 00000001AC68: 0BA9A931
	v_mul_f32_e32 v213, v49, v213                              // 00000001AC6C: 0BABAB31
	v_mul_f32_e32 v214, v49, v214                              // 00000001AC70: 0BADAD31
	v_mul_f32_e32 v215, v49, v215                              // 00000001AC74: 0BAFAF31
	s_waitcnt lgkmcnt(0)                                       // 00000001AC78: BF8CC07F
	s_barrier                                                  // 00000001AC7C: BF8A0000
	ds_read_b32 v64, v7 offset:16896                           // 00000001AC80: D86C4200 40000007
	ds_read_b32 v65, v7 offset:16960                           // 00000001AC88: D86C4240 41000007
	ds_read_b32 v66, v7 offset:17024                           // 00000001AC90: D86C4280 42000007
	ds_read_b32 v67, v7 offset:17088                           // 00000001AC98: D86C42C0 43000007
	ds_read_b32 v68, v7 offset:17152                           // 00000001ACA0: D86C4300 44000007
	ds_read_b32 v69, v7 offset:17216                           // 00000001ACA8: D86C4340 45000007
	ds_read_b32 v70, v7 offset:17280                           // 00000001ACB0: D86C4380 46000007
	ds_read_b32 v71, v7 offset:17344                           // 00000001ACB8: D86C43C0 47000007
	ds_read_b32 v72, v7 offset:17408                           // 00000001ACC0: D86C4400 48000007
	ds_read_b32 v73, v7 offset:17472                           // 00000001ACC8: D86C4440 49000007
	ds_read_b32 v74, v7 offset:17536                           // 00000001ACD0: D86C4480 4A000007
	ds_read_b32 v75, v7 offset:17600                           // 00000001ACD8: D86C44C0 4B000007
	ds_read_b32 v76, v7 offset:17664                           // 00000001ACE0: D86C4500 4C000007
	ds_read_b32 v77, v7 offset:17728                           // 00000001ACE8: D86C4540 4D000007
	ds_read_b32 v78, v7 offset:17792                           // 00000001ACF0: D86C4580 4E000007
	ds_read_b32 v79, v7 offset:17856                           // 00000001ACF8: D86C45C0 4F000007
	v_mul_f32_e32 v176, v44, v176                              // 00000001AD00: 0B61612C
	v_mul_f32_e32 v177, v44, v177                              // 00000001AD04: 0B63632C
	v_mul_f32_e32 v178, v44, v178                              // 00000001AD08: 0B65652C
	v_mul_f32_e32 v179, v44, v179                              // 00000001AD0C: 0B67672C
	v_mul_f32_e32 v180, v44, v180                              // 00000001AD10: 0B69692C
	v_mul_f32_e32 v181, v44, v181                              // 00000001AD14: 0B6B6B2C
	v_mul_f32_e32 v182, v44, v182                              // 00000001AD18: 0B6D6D2C
	v_mul_f32_e32 v183, v44, v183                              // 00000001AD1C: 0B6F6F2C
	s_waitcnt lgkmcnt(0)                                       // 00000001AD20: BF8CC07F
	v_max3_f32 v48, v64, v65, v48                              // 00000001AD24: D1D30030 04C28340
	v_max3_f32 v48, v66, v67, v48                              // 00000001AD2C: D1D30030 04C28742
	v_max3_f32 v48, v68, v69, v48                              // 00000001AD34: D1D30030 04C28B44
	v_max3_f32 v48, v70, v71, v48                              // 00000001AD3C: D1D30030 04C28F46
	v_max3_f32 v48, v72, v73, v48                              // 00000001AD44: D1D30030 04C29348
	v_max3_f32 v48, v74, v75, v48                              // 00000001AD4C: D1D30030 04C2974A
	v_max3_f32 v48, v76, v77, v48                              // 00000001AD54: D1D30030 04C29B4C
	v_max3_f32 v48, v78, v79, v48                              // 00000001AD5C: D1D30030 04C29F4E
	v_mov_b32_e32 v64, 0xff800000                              // 00000001AD64: 7E8002FF FF800000
	v_cmp_eq_u32_e64 s[40:41], v64, v11                        // 00000001AD6C: D0CA0028 00021740
	s_nop 1                                                    // 00000001AD74: BF800001
	v_max_f32_e32 v15, v48, v11                                // 00000001AD78: 161E1730
	v_mul_f32_e32 v53, s64, v15                                // 00000001AD7C: 0A6A1E40
	v_fma_f32 v112, v112, s64, -v53                            // 00000001AD80: D1CB0070 84D48170
	v_fma_f32 v113, v113, s64, -v53                            // 00000001AD88: D1CB0071 84D48171
	v_fma_f32 v114, v114, s64, -v53                            // 00000001AD90: D1CB0072 84D48172
	v_fma_f32 v115, v115, s64, -v53                            // 00000001AD98: D1CB0073 84D48173
	v_fma_f32 v116, v116, s64, -v53                            // 00000001ADA0: D1CB0074 84D48174
	v_fma_f32 v117, v117, s64, -v53                            // 00000001ADA8: D1CB0075 84D48175
	v_fma_f32 v118, v118, s64, -v53                            // 00000001ADB0: D1CB0076 84D48176
	v_fma_f32 v119, v119, s64, -v53                            // 00000001ADB8: D1CB0077 84D48177
	v_fma_f32 v120, v120, s64, -v53                            // 00000001ADC0: D1CB0078 84D48178
	v_fma_f32 v121, v121, s64, -v53                            // 00000001ADC8: D1CB0079 84D48179
	v_fma_f32 v122, v122, s64, -v53                            // 00000001ADD0: D1CB007A 84D4817A
	v_fma_f32 v123, v123, s64, -v53                            // 00000001ADD8: D1CB007B 84D4817B
	v_fma_f32 v124, v124, s64, -v53                            // 00000001ADE0: D1CB007C 84D4817C
	v_fma_f32 v125, v125, s64, -v53                            // 00000001ADE8: D1CB007D 84D4817D
	v_fma_f32 v126, v126, s64, -v53                            // 00000001ADF0: D1CB007E 84D4817E
	v_fma_f32 v127, v127, s64, -v53                            // 00000001ADF8: D1CB007F 84D4817F
	v_exp_f32_e32 v112, v112                                   // 00000001AE00: 7EE04170
	v_exp_f32_e32 v113, v113                                   // 00000001AE04: 7EE24171
	v_exp_f32_e32 v114, v114                                   // 00000001AE08: 7EE44172
	v_exp_f32_e32 v115, v115                                   // 00000001AE0C: 7EE64173
	v_exp_f32_e32 v116, v116                                   // 00000001AE10: 7EE84174
	v_exp_f32_e32 v117, v117                                   // 00000001AE14: 7EEA4175
	v_exp_f32_e32 v118, v118                                   // 00000001AE18: 7EEC4176
	v_exp_f32_e32 v119, v119                                   // 00000001AE1C: 7EEE4177
	v_exp_f32_e32 v120, v120                                   // 00000001AE20: 7EF04178
	v_exp_f32_e32 v121, v121                                   // 00000001AE24: 7EF24179
	v_exp_f32_e32 v122, v122                                   // 00000001AE28: 7EF4417A
	v_exp_f32_e32 v123, v123                                   // 00000001AE2C: 7EF6417B
	v_exp_f32_e32 v124, v124                                   // 00000001AE30: 7EF8417C
	v_exp_f32_e32 v125, v125                                   // 00000001AE34: 7EFA417D
	v_exp_f32_e32 v126, v126                                   // 00000001AE38: 7EFC417E
	v_exp_f32_e32 v127, v127                                   // 00000001AE3C: 7EFE417F
	v_mul_f32_dpp v240, v252, v112 quad_perm:[0,0,0,0] row_mask:0xf bank_mask:0xf// 00000001AE40: 0BE0E0FA FF0000FC
	v_mul_f32_dpp v241, v252, v113 quad_perm:[1,1,1,1] row_mask:0xf bank_mask:0xf// 00000001AE48: 0BE2E2FA FF0055FC
	v_mul_f32_dpp v242, v252, v114 quad_perm:[2,2,2,2] row_mask:0xf bank_mask:0xf// 00000001AE50: 0BE4E4FA FF00AAFC
	v_mul_f32_dpp v243, v252, v115 quad_perm:[3,3,3,3] row_mask:0xf bank_mask:0xf// 00000001AE58: 0BE6E6FA FF00FFFC
	v_mul_f32_dpp v244, v253, v116 quad_perm:[0,0,0,0] row_mask:0xf bank_mask:0xf// 00000001AE60: 0BE8E8FA FF0000FD
	v_mul_f32_dpp v245, v253, v117 quad_perm:[1,1,1,1] row_mask:0xf bank_mask:0xf// 00000001AE68: 0BEAEAFA FF0055FD
	v_mul_f32_dpp v246, v253, v118 quad_perm:[2,2,2,2] row_mask:0xf bank_mask:0xf// 00000001AE70: 0BECECFA FF00AAFD
	v_mul_f32_dpp v247, v253, v119 quad_perm:[3,3,3,3] row_mask:0xf bank_mask:0xf// 00000001AE78: 0BEEEEFA FF00FFFD
	v_mul_f32_dpp v248, v254, v120 quad_perm:[0,0,0,0] row_mask:0xf bank_mask:0xf// 00000001AE80: 0BF0F0FA FF0000FE
	v_mul_f32_dpp v249, v254, v121 quad_perm:[1,1,1,1] row_mask:0xf bank_mask:0xf// 00000001AE88: 0BF2F2FA FF0055FE
	v_mul_f32_dpp v250, v254, v122 quad_perm:[2,2,2,2] row_mask:0xf bank_mask:0xf// 00000001AE90: 0BF4F4FA FF00AAFE
	v_mul_f32_dpp v251, v254, v123 quad_perm:[3,3,3,3] row_mask:0xf bank_mask:0xf// 00000001AE98: 0BF6F6FA FF00FFFE
	v_mul_f32_dpp v252, v255, v124 quad_perm:[0,0,0,0] row_mask:0xf bank_mask:0xf// 00000001AEA0: 0BF8F8FA FF0000FF
	v_mul_f32_dpp v253, v255, v125 quad_perm:[1,1,1,1] row_mask:0xf bank_mask:0xf// 00000001AEA8: 0BFAFAFA FF0055FF
	v_mul_f32_dpp v254, v255, v126 quad_perm:[2,2,2,2] row_mask:0xf bank_mask:0xf// 00000001AEB0: 0BFCFCFA FF00AAFF
	v_mul_f32_dpp v255, v255, v127 quad_perm:[3,3,3,3] row_mask:0xf bank_mask:0xf// 00000001AEB8: 0BFEFEFA FF00FFFF
	v_mov_b32_e32 v48, 0x358637bd                              // 00000001AEC0: 7E6002FF 358637BD
	v_max3_f32 v48, |v240|, |v241|, v48                        // 00000001AEC8: D1D30330 04C3E3F0
	v_max3_f32 v48, |v242|, |v243|, v48                        // 00000001AED0: D1D30330 04C3E7F2
	v_max3_f32 v48, |v244|, |v245|, v48                        // 00000001AED8: D1D30330 04C3EBF4
	v_max3_f32 v48, |v246|, |v247|, v48                        // 00000001AEE0: D1D30330 04C3EFF6
	v_max3_f32 v48, |v248|, |v249|, v48                        // 00000001AEE8: D1D30330 04C3F3F8
	v_max3_f32 v48, |v250|, |v251|, v48                        // 00000001AEF0: D1D30330 04C3F7FA
	v_max3_f32 v48, |v252|, |v253|, v48                        // 00000001AEF8: D1D30330 04C3FBFC
	v_max3_f32 v48, |v254|, |v255|, v48                        // 00000001AF00: D1D30330 04C3FFFE
	ds_write_b32 v8, v48 offset:20992                          // 00000001AF08: D81A5200 00003008
	v_sub_f32_e32 v49, v11, v15                                // 00000001AF10: 04621F0B
	v_cndmask_b32_e64 v49, v49, 0, s[40:41]                    // 00000001AF14: D1000031 00A10131
	v_mov_b32_e32 v11, v15                                     // 00000001AF1C: 7E16030F
	v_mul_f32_e32 v49, s64, v49                                // 00000001AF20: 0A626240
	v_exp_f32_e32 v49, v49                                     // 00000001AF24: 7E624131
	s_waitcnt lgkmcnt(0)                                       // 00000001AF28: BF8CC07F
	s_barrier                                                  // 00000001AF2C: BF8A0000
	ds_read_b32 v64, v7 offset:20992                           // 00000001AF30: D86C5200 40000007
	ds_read_b32 v65, v7 offset:21056                           // 00000001AF38: D86C5240 41000007
	ds_read_b32 v66, v7 offset:21120                           // 00000001AF40: D86C5280 42000007
	ds_read_b32 v67, v7 offset:21184                           // 00000001AF48: D86C52C0 43000007
	ds_read_b32 v68, v7 offset:21248                           // 00000001AF50: D86C5300 44000007
	ds_read_b32 v69, v7 offset:21312                           // 00000001AF58: D86C5340 45000007
	ds_read_b32 v70, v7 offset:21376                           // 00000001AF60: D86C5380 46000007
	ds_read_b32 v71, v7 offset:21440                           // 00000001AF68: D86C53C0 47000007
	ds_read_b32 v72, v7 offset:21504                           // 00000001AF70: D86C5400 48000007
	ds_read_b32 v73, v7 offset:21568                           // 00000001AF78: D86C5440 49000007
	ds_read_b32 v74, v7 offset:21632                           // 00000001AF80: D86C5480 4A000007
	ds_read_b32 v75, v7 offset:21696                           // 00000001AF88: D86C54C0 4B000007
	ds_read_b32 v76, v7 offset:21760                           // 00000001AF90: D86C5500 4C000007
	ds_read_b32 v77, v7 offset:21824                           // 00000001AF98: D86C5540 4D000007
	ds_read_b32 v78, v7 offset:21888                           // 00000001AFA0: D86C5580 4E000007
	ds_read_b32 v79, v7 offset:21952                           // 00000001AFA8: D86C55C0 4F000007
	v_mul_f32_e32 v38, v49, v38                                // 00000001AFB0: 0A4C4D31
	v_mov_b32_e32 v15, v112                                    // 00000001AFB4: 7E1E0370
	v_add_f32_e32 v15, v113, v15                               // 00000001AFB8: 021E1F71
	v_add_f32_e32 v15, v114, v15                               // 00000001AFBC: 021E1F72
	v_add_f32_e32 v15, v115, v15                               // 00000001AFC0: 021E1F73
	v_add_f32_e32 v15, v116, v15                               // 00000001AFC4: 021E1F74
	v_add_f32_e32 v15, v117, v15                               // 00000001AFC8: 021E1F75
	v_add_f32_e32 v15, v118, v15                               // 00000001AFCC: 021E1F76
	v_add_f32_e32 v15, v119, v15                               // 00000001AFD0: 021E1F77
	v_add_f32_e32 v15, v120, v15                               // 00000001AFD4: 021E1F78
	v_add_f32_e32 v15, v121, v15                               // 00000001AFD8: 021E1F79
	v_add_f32_e32 v15, v122, v15                               // 00000001AFDC: 021E1F7A
	v_add_f32_e32 v15, v123, v15                               // 00000001AFE0: 021E1F7B
	v_add_f32_e32 v15, v124, v15                               // 00000001AFE4: 021E1F7C
	v_add_f32_e32 v15, v125, v15                               // 00000001AFE8: 021E1F7D
	v_add_f32_e32 v15, v126, v15                               // 00000001AFEC: 021E1F7E
	v_add_f32_e32 v15, v127, v15                               // 00000001AFF0: 021E1F7F
	v_add_f32_e32 v38, v15, v38                                // 00000001AFF4: 024C4D0F
	s_waitcnt lgkmcnt(0)                                       // 00000001AFF8: BF8CC07F
	v_max3_f32 v48, |v64|, |v65|, v48                          // 00000001AFFC: D1D30330 04C28340
	v_max3_f32 v48, |v66|, |v67|, v48                          // 00000001B004: D1D30330 04C28742
	v_max3_f32 v48, |v68|, |v69|, v48                          // 00000001B00C: D1D30330 04C28B44
	v_max3_f32 v48, |v70|, |v71|, v48                          // 00000001B014: D1D30330 04C28F46
	v_max3_f32 v48, |v72|, |v73|, v48                          // 00000001B01C: D1D30330 04C29348
	v_max3_f32 v48, |v74|, |v75|, v48                          // 00000001B024: D1D30330 04C2974A
	v_max3_f32 v48, |v76|, |v77|, v48                          // 00000001B02C: D1D30330 04C29B4C
	v_max3_f32 v48, |v78|, |v79|, v48                          // 00000001B034: D1D30330 04C29F4E
	s_nop 2                                                    // 00000001B03C: BF800002
	v_rcp_f32_e32 v48, v48                                     // 00000001B040: 7E604530
	s_nop 1                                                    // 00000001B044: BF800001
	v_mul_f32_e32 v48, 0x43700000, v48                         // 00000001B048: 0A6060FF 43700000
	v_mul_f32_e32 v112, v48, v240                              // 00000001B050: 0AE1E130
	v_mul_f32_e32 v113, v48, v241                              // 00000001B054: 0AE3E330
	v_mul_f32_e32 v114, v48, v242                              // 00000001B058: 0AE5E530
	v_mul_f32_e32 v115, v48, v243                              // 00000001B05C: 0AE7E730
	v_mul_f32_e32 v116, v48, v244                              // 00000001B060: 0AE9E930
	v_mul_f32_e32 v117, v48, v245                              // 00000001B064: 0AEBEB30
	v_mul_f32_e32 v118, v48, v246                              // 00000001B068: 0AEDED30
	v_mul_f32_e32 v119, v48, v247                              // 00000001B06C: 0AEFEF30
	v_mul_f32_e32 v120, v48, v248                              // 00000001B070: 0AF1F130
	v_mul_f32_e32 v121, v48, v249                              // 00000001B074: 0AF3F330
	v_mul_f32_e32 v122, v48, v250                              // 00000001B078: 0AF5F530
	v_mul_f32_e32 v123, v48, v251                              // 00000001B07C: 0AF7F730
	v_mul_f32_e32 v124, v48, v252                              // 00000001B080: 0AF9F930
	v_mul_f32_e32 v125, v48, v253                              // 00000001B084: 0AFBFB30
	v_mul_f32_e32 v126, v48, v254                              // 00000001B088: 0AFDFD30
	v_mul_f32_e32 v127, v48, v255                              // 00000001B08C: 0AFFFF30
	v_cvt_pk_fp8_f32 v112, v112, v113                          // 00000001B090: D2A20070 0002E370
	v_cvt_pk_fp8_f32 v112, v114, v115 op_sel:[0,0,1]           // 00000001B098: D2A24070 0002E772
	v_cvt_pk_fp8_f32 v113, v116, v117                          // 00000001B0A0: D2A20071 0002EB74
	v_cvt_pk_fp8_f32 v113, v118, v119 op_sel:[0,0,1]           // 00000001B0A8: D2A24071 0002EF76
	v_cvt_pk_fp8_f32 v114, v120, v121                          // 00000001B0B0: D2A20072 0002F378
	v_cvt_pk_fp8_f32 v114, v122, v123 op_sel:[0,0,1]           // 00000001B0B8: D2A24072 0002F77A
	v_cvt_pk_fp8_f32 v115, v124, v125                          // 00000001B0C0: D2A20073 0002FB7C
	v_cvt_pk_fp8_f32 v115, v126, v127 op_sel:[0,0,1]           // 00000001B0C8: D2A24073 0002FF7E
	ds_write_b32 v10, v112 offset:25088                        // 00000001B0D0: D81A6200 0000700A
	ds_write_b32 v10, v113 offset:26112                        // 00000001B0D8: D81A6600 0000710A
	ds_write_b32 v10, v114 offset:27136                        // 00000001B0E0: D81A6A00 0000720A
	ds_write_b32 v10, v115 offset:28160                        // 00000001B0E8: D81A6E00 0000730A
	v_add_f32_e32 v208, v208, v176                             // 00000001B0F0: 03A161D0
	v_add_f32_e32 v209, v209, v177                             // 00000001B0F4: 03A363D1
	v_add_f32_e32 v210, v210, v178                             // 00000001B0F8: 03A565D2
	v_add_f32_e32 v211, v211, v179                             // 00000001B0FC: 03A767D3
	v_add_f32_e32 v212, v212, v180                             // 00000001B100: 03A969D4
	v_add_f32_e32 v213, v213, v181                             // 00000001B104: 03AB6BD5
	v_add_f32_e32 v214, v214, v182                             // 00000001B108: 03AD6DD6
	v_add_f32_e32 v215, v215, v183                             // 00000001B10C: 03AF6FD7
	v_rcp_f32_e32 v44, v48                                     // 00000001B110: 7E584530
	s_waitcnt lgkmcnt(0)                                       // 00000001B114: BF8CC07F
	s_barrier                                                  // 00000001B118: BF8A0000
	ds_read_b64 v[112:113], v9 offset:25088                    // 00000001B11C: D8EC6200 70000009
	ds_read_b64 v[114:115], v9 offset:25216                    // 00000001B124: D8EC6280 72000009
	ds_read_b64 v[116:117], v9 offset:26112                    // 00000001B12C: D8EC6600 74000009
	ds_read_b64 v[118:119], v9 offset:26240                    // 00000001B134: D8EC6680 76000009
	ds_read_b64 v[120:121], v9 offset:27136                    // 00000001B13C: D8EC6A00 78000009
	ds_read_b64 v[122:123], v9 offset:27264                    // 00000001B144: D8EC6A80 7A000009
	ds_read_b64 v[124:125], v9 offset:28160                    // 00000001B14C: D8EC6E00 7C000009
	ds_read_b64 v[126:127], v9 offset:28288                    // 00000001B154: D8EC6E80 7E000009
	v_mov_b32_dpp v64, v43 row_shr:4 row_mask:0xf bank_mask:0xf// 00000001B15C: 7E8002FA FF01142B
	v_mov_b32_dpp v65, v43 row_shl:4 row_mask:0xf bank_mask:0xf// 00000001B164: 7E8202FA FF01042B
	v_cndmask_b32_e64 v248, v43, v64, s[44:45]                 // 00000001B16C: D10000F8 00B2812B
	v_cndmask_b32_e64 v249, v65, v43, s[44:45]                 // 00000001B174: D10000F9 00B25741
	v_mov_b32_dpp v64, v248 row_shr:8 row_mask:0xf bank_mask:0xf// 00000001B17C: 7E8002FA FF0118F8
	v_mov_b32_dpp v65, v248 row_shl:8 row_mask:0xf bank_mask:0xf// 00000001B184: 7E8202FA FF0108F8
	v_mov_b32_dpp v66, v249 row_shr:8 row_mask:0xf bank_mask:0xf// 00000001B18C: 7E8402FA FF0118F9
	v_mov_b32_dpp v67, v249 row_shl:8 row_mask:0xf bank_mask:0xf// 00000001B194: 7E8602FA FF0108F9
	v_mov_b32_e32 v68, v248                                    // 00000001B19C: 7E8803F8
	v_mov_b32_e32 v69, v249                                    // 00000001B1A0: 7E8A03F9
	v_cndmask_b32_e64 v248, v68, v64, s[42:43]                 // 00000001B1A4: D10000F8 00AA8144
	v_cndmask_b32_e64 v250, v68, v65, s[78:79]                 // 00000001B1AC: D10000FA 013A8344
	v_cndmask_b32_e64 v249, v69, v66, s[42:43]                 // 00000001B1B4: D10000F9 00AA8545
	v_cndmask_b32_e64 v251, v69, v67, s[78:79]                 // 00000001B1BC: D10000FB 013A8745
	v_mov_b32_dpp v64, v58 row_shr:4 row_mask:0xf bank_mask:0xf// 00000001B1C4: 7E8002FA FF01143A
	v_mov_b32_dpp v65, v58 row_shl:4 row_mask:0xf bank_mask:0xf// 00000001B1CC: 7E8202FA FF01043A
	v_cndmask_b32_e64 v252, v58, v64, s[44:45]                 // 00000001B1D4: D10000FC 00B2813A
	v_cndmask_b32_e64 v253, v65, v58, s[44:45]                 // 00000001B1DC: D10000FD 00B27541
	v_mov_b32_dpp v64, v252 row_shr:8 row_mask:0xf bank_mask:0xf// 00000001B1E4: 7E8002FA FF0118FC
	v_mov_b32_dpp v65, v252 row_shl:8 row_mask:0xf bank_mask:0xf// 00000001B1EC: 7E8202FA FF0108FC
	v_mov_b32_dpp v66, v253 row_shr:8 row_mask:0xf bank_mask:0xf// 00000001B1F4: 7E8402FA FF0118FD
	v_mov_b32_dpp v67, v253 row_shl:8 row_mask:0xf bank_mask:0xf// 00000001B1FC: 7E8602FA FF0108FD
	v_mov_b32_e32 v68, v252                                    // 00000001B204: 7E8803FC
	v_mov_b32_e32 v69, v253                                    // 00000001B208: 7E8A03FD
	v_cndmask_b32_e64 v252, v68, v64, s[42:43]                 // 00000001B20C: D10000FC 00AA8144
	v_cndmask_b32_e64 v254, v68, v65, s[78:79]                 // 00000001B214: D10000FE 013A8344
	v_cndmask_b32_e64 v253, v69, v66, s[42:43]                 // 00000001B21C: D10000FD 00AA8545
	v_cndmask_b32_e64 v255, v69, v67, s[78:79]                 // 00000001B224: D10000FF 013A8745
	v_mul_f32_e32 v128, v19, v128                              // 00000001B22C: 0B010113
	v_mul_f32_e32 v129, v19, v129                              // 00000001B230: 0B030313
	v_mul_f32_e32 v130, v19, v130                              // 00000001B234: 0B050513
	v_mul_f32_e32 v131, v19, v131                              // 00000001B238: 0B070713
	v_mul_f32_e32 v132, v19, v132                              // 00000001B23C: 0B090913
	v_mul_f32_e32 v133, v19, v133                              // 00000001B240: 0B0B0B13
	v_mul_f32_e32 v134, v19, v134                              // 00000001B244: 0B0D0D13
	v_mul_f32_e32 v135, v19, v135                              // 00000001B248: 0B0F0F13
	v_mul_f32_e32 v136, v19, v136                              // 00000001B24C: 0B111113
	v_mul_f32_e32 v137, v19, v137                              // 00000001B250: 0B131313
	v_mul_f32_e32 v138, v19, v138                              // 00000001B254: 0B151513
	v_mul_f32_e32 v139, v19, v139                              // 00000001B258: 0B171713
	v_mul_f32_e32 v140, v19, v140                              // 00000001B25C: 0B191913
	v_mul_f32_e32 v141, v19, v141                              // 00000001B260: 0B1B1B13
	v_mul_f32_e32 v142, v19, v142                              // 00000001B264: 0B1D1D13
	v_mul_f32_e32 v143, v19, v143                              // 00000001B268: 0B1F1F13
	v_mul_f32_dpp v128, v248, v128 quad_perm:[0,0,0,0] row_mask:0xf bank_mask:0xf// 00000001B26C: 0B0100FA FF0000F8
	v_mul_f32_dpp v129, v248, v129 quad_perm:[1,1,1,1] row_mask:0xf bank_mask:0xf// 00000001B274: 0B0302FA FF0055F8
	v_mul_f32_dpp v130, v248, v130 quad_perm:[2,2,2,2] row_mask:0xf bank_mask:0xf// 00000001B27C: 0B0504FA FF00AAF8
	v_mul_f32_dpp v131, v248, v131 quad_perm:[3,3,3,3] row_mask:0xf bank_mask:0xf// 00000001B284: 0B0706FA FF00FFF8
	v_mul_f32_dpp v132, v249, v132 quad_perm:[0,0,0,0] row_mask:0xf bank_mask:0xf// 00000001B28C: 0B0908FA FF0000F9
	v_mul_f32_dpp v133, v249, v133 quad_perm:[1,1,1,1] row_mask:0xf bank_mask:0xf// 00000001B294: 0B0B0AFA FF0055F9
	v_mul_f32_dpp v134, v249, v134 quad_perm:[2,2,2,2] row_mask:0xf bank_mask:0xf// 00000001B29C: 0B0D0CFA FF00AAF9
	v_mul_f32_dpp v135, v249, v135 quad_perm:[3,3,3,3] row_mask:0xf bank_mask:0xf// 00000001B2A4: 0B0F0EFA FF00FFF9
	v_mul_f32_dpp v136, v250, v136 quad_perm:[0,0,0,0] row_mask:0xf bank_mask:0xf// 00000001B2AC: 0B1110FA FF0000FA
	v_mul_f32_dpp v137, v250, v137 quad_perm:[1,1,1,1] row_mask:0xf bank_mask:0xf// 00000001B2B4: 0B1312FA FF0055FA
	v_mul_f32_dpp v138, v250, v138 quad_perm:[2,2,2,2] row_mask:0xf bank_mask:0xf// 00000001B2BC: 0B1514FA FF00AAFA
	v_mul_f32_dpp v139, v250, v139 quad_perm:[3,3,3,3] row_mask:0xf bank_mask:0xf// 00000001B2C4: 0B1716FA FF00FFFA
	v_mul_f32_dpp v140, v251, v140 quad_perm:[0,0,0,0] row_mask:0xf bank_mask:0xf// 00000001B2CC: 0B1918FA FF0000FB
	v_mul_f32_dpp v141, v251, v141 quad_perm:[1,1,1,1] row_mask:0xf bank_mask:0xf// 00000001B2D4: 0B1B1AFA FF0055FB
	v_mul_f32_dpp v142, v251, v142 quad_perm:[2,2,2,2] row_mask:0xf bank_mask:0xf// 00000001B2DC: 0B1D1CFA FF00AAFB
	v_mul_f32_dpp v143, v251, v143 quad_perm:[3,3,3,3] row_mask:0xf bank_mask:0xf// 00000001B2E4: 0B1F1EFA FF00FFFB
	s_cmp_le_i32 s90, s89                                      // 00000001B2EC: BF05595A
	s_cbranch_scc1 label_64AE                                  // 00000001B2F0: BF850071
	v_mov_b32_e32 v66, 0xff800000                              // 00000001B2F4: 7E8402FF FF800000
	s_mov_b32 s60, s90                                         // 00000001B2FC: BEBC005A
	s_add_u32 s61, s89, 0xff                                   // 00000001B300: 803DFF59 000000FF
	v_mov_b32_e32 v64, s61                                     // 00000001B308: 7E80023D
	v_lshrrev_b32_e32 v240, 4, v0                              // 00000001B30C: 21E00084
	v_mul_i32_i24_e32 v240, 4, v240                            // 00000001B310: 0DE1E084
	v_add_u32_e32 v240, s60, v240                              // 00000001B314: 69E1E03C
	s_mov_b32 s61, 1                                           // 00000001B318: BEBD0081
	s_mul_i32 s60, 16, s7                                      // 00000001B31C: 923C0790
	v_sub_u32_e64 v240, v240, s61                              // 00000001B320: D13500F0 00007BF0
	v_add_u32_e32 v240, s60, v240                              // 00000001B328: 69E1E03C
	v_add_u32_e32 v241, 1, v240                                // 00000001B32C: 69E3E081
	v_add_u32_e32 v242, 2, v240                                // 00000001B330: 69E5E082
	v_add_u32_e32 v243, 3, v240                                // 00000001B334: 69E7E083
	v_cmp_le_u32_e64 s[40:41], v240, v64                       // 00000001B338: D0CB0028 000281F0
	v_add_u32_e32 v240, 64, v240                               // 00000001B340: 69E1E0C0
	s_nop 0                                                    // 00000001B344: BF800000
	v_cndmask_b32_e64 v128, v66, v128, s[40:41]                // 00000001B348: D1000080 00A30142
	v_cmp_le_u32_e64 s[40:41], v241, v64                       // 00000001B350: D0CB0028 000281F1
	v_add_u32_e32 v241, 64, v241                               // 00000001B358: 69E3E2C0
	s_nop 0                                                    // 00000001B35C: BF800000
	v_cndmask_b32_e64 v129, v66, v129, s[40:41]                // 00000001B360: D1000081 00A30342
	v_cmp_le_u32_e64 s[40:41], v242, v64                       // 00000001B368: D0CB0028 000281F2
	v_add_u32_e32 v242, 64, v242                               // 00000001B370: 69E5E4C0
	s_nop 0                                                    // 00000001B374: BF800000
	v_cndmask_b32_e64 v130, v66, v130, s[40:41]                // 00000001B378: D1000082 00A30542
	v_cmp_le_u32_e64 s[40:41], v243, v64                       // 00000001B380: D0CB0028 000281F3
	v_add_u32_e32 v243, 64, v243                               // 00000001B388: 69E7E6C0
	s_nop 0                                                    // 00000001B38C: BF800000
	v_cndmask_b32_e64 v131, v66, v131, s[40:41]                // 00000001B390: D1000083 00A30742
	v_cmp_le_u32_e64 s[40:41], v240, v64                       // 00000001B398: D0CB0028 000281F0
	v_add_u32_e32 v240, 64, v240                               // 00000001B3A0: 69E1E0C0
	s_nop 0                                                    // 00000001B3A4: BF800000
	v_cndmask_b32_e64 v132, v66, v132, s[40:41]                // 00000001B3A8: D1000084 00A30942
	v_cmp_le_u32_e64 s[40:41], v241, v64                       // 00000001B3B0: D0CB0028 000281F1
	v_add_u32_e32 v241, 64, v241                               // 00000001B3B8: 69E3E2C0
	s_nop 0                                                    // 00000001B3BC: BF800000
	v_cndmask_b32_e64 v133, v66, v133, s[40:41]                // 00000001B3C0: D1000085 00A30B42
	v_cmp_le_u32_e64 s[40:41], v242, v64                       // 00000001B3C8: D0CB0028 000281F2
	v_add_u32_e32 v242, 64, v242                               // 00000001B3D0: 69E5E4C0
	s_nop 0                                                    // 00000001B3D4: BF800000
	v_cndmask_b32_e64 v134, v66, v134, s[40:41]                // 00000001B3D8: D1000086 00A30D42
	v_cmp_le_u32_e64 s[40:41], v243, v64                       // 00000001B3E0: D0CB0028 000281F3
	v_add_u32_e32 v243, 64, v243                               // 00000001B3E8: 69E7E6C0
	s_nop 0                                                    // 00000001B3EC: BF800000
	v_cndmask_b32_e64 v135, v66, v135, s[40:41]                // 00000001B3F0: D1000087 00A30F42
	v_cmp_le_u32_e64 s[40:41], v240, v64                       // 00000001B3F8: D0CB0028 000281F0
	v_add_u32_e32 v240, 64, v240                               // 00000001B400: 69E1E0C0
	s_nop 0                                                    // 00000001B404: BF800000
	v_cndmask_b32_e64 v136, v66, v136, s[40:41]                // 00000001B408: D1000088 00A31142
	v_cmp_le_u32_e64 s[40:41], v241, v64                       // 00000001B410: D0CB0028 000281F1
	v_add_u32_e32 v241, 64, v241                               // 00000001B418: 69E3E2C0
	s_nop 0                                                    // 00000001B41C: BF800000
	v_cndmask_b32_e64 v137, v66, v137, s[40:41]                // 00000001B420: D1000089 00A31342
	v_cmp_le_u32_e64 s[40:41], v242, v64                       // 00000001B428: D0CB0028 000281F2
	v_add_u32_e32 v242, 64, v242                               // 00000001B430: 69E5E4C0
	s_nop 0                                                    // 00000001B434: BF800000
	v_cndmask_b32_e64 v138, v66, v138, s[40:41]                // 00000001B438: D100008A 00A31542
	v_cmp_le_u32_e64 s[40:41], v243, v64                       // 00000001B440: D0CB0028 000281F3
	v_add_u32_e32 v243, 64, v243                               // 00000001B448: 69E7E6C0
	s_nop 0                                                    // 00000001B44C: BF800000
	v_cndmask_b32_e64 v139, v66, v139, s[40:41]                // 00000001B450: D100008B 00A31742
	v_cmp_le_u32_e64 s[40:41], v240, v64                       // 00000001B458: D0CB0028 000281F0
	v_add_u32_e32 v240, 64, v240                               // 00000001B460: 69E1E0C0
	s_nop 0                                                    // 00000001B464: BF800000
	v_cndmask_b32_e64 v140, v66, v140, s[40:41]                // 00000001B468: D100008C 00A31942
	v_cmp_le_u32_e64 s[40:41], v241, v64                       // 00000001B470: D0CB0028 000281F1
	v_add_u32_e32 v241, 64, v241                               // 00000001B478: 69E3E2C0
	s_nop 0                                                    // 00000001B47C: BF800000
	v_cndmask_b32_e64 v141, v66, v141, s[40:41]                // 00000001B480: D100008D 00A31B42
	v_cmp_le_u32_e64 s[40:41], v242, v64                       // 00000001B488: D0CB0028 000281F2
	v_add_u32_e32 v242, 64, v242                               // 00000001B490: 69E5E4C0
	s_nop 0                                                    // 00000001B494: BF800000
	v_cndmask_b32_e64 v142, v66, v142, s[40:41]                // 00000001B498: D100008E 00A31D42
	v_cmp_le_u32_e64 s[40:41], v243, v64                       // 00000001B4A0: D0CB0028 000281F3
	v_add_u32_e32 v243, 64, v243                               // 00000001B4A8: 69E7E6C0
	s_nop 0                                                    // 00000001B4AC: BF800000
	v_cndmask_b32_e64 v143, v66, v143, s[40:41]                // 00000001B4B0: D100008F 00A31F42

000000000001b4b8 <label_64AE>:
	s_and_b32 s60, s72, 0xff                                   // 00000001B4B8: 863CFF48 000000FF
	v_mov_b32_e32 v65, s60                                     // 00000001B4C0: 7E82023C
	v_lshrrev_b32_e32 v240, 4, v0                              // 00000001B4C4: 21E00084
	v_mul_i32_i24_e32 v240, 4, v240                            // 00000001B4C8: 0DE1E084
	s_mul_i32 s60, s7, 16                                      // 00000001B4CC: 923C9007
	v_add_u32_e32 v240, s60, v240                              // 00000001B4D0: 69E1E03C
	v_add_u32_e32 v241, 1, v240                                // 00000001B4D4: 69E3E081
	v_add_u32_e32 v242, 2, v240                                // 00000001B4D8: 69E5E082
	v_add_u32_e32 v243, 3, v240                                // 00000001B4DC: 69E7E083
	v_mov_b32_e32 v64, 0xff800000                              // 00000001B4E0: 7E8002FF FF800000
	v_cmp_lt_u32_e64 s[40:41], v240, v65                       // 00000001B4E8: D0C90028 000283F0
	v_add_u32_e32 v240, 64, v240                               // 00000001B4F0: 69E1E0C0
	s_nop 0                                                    // 00000001B4F4: BF800000
	v_cndmask_b32_e64 v128, v64, v128, s[40:41]                // 00000001B4F8: D1000080 00A30140
	v_cmp_lt_u32_e64 s[40:41], v241, v65                       // 00000001B500: D0C90028 000283F1
	v_add_u32_e32 v241, 64, v241                               // 00000001B508: 69E3E2C0
	s_nop 0                                                    // 00000001B50C: BF800000
	v_cndmask_b32_e64 v129, v64, v129, s[40:41]                // 00000001B510: D1000081 00A30340
	v_cmp_lt_u32_e64 s[40:41], v242, v65                       // 00000001B518: D0C90028 000283F2
	v_add_u32_e32 v242, 64, v242                               // 00000001B520: 69E5E4C0
	s_nop 0                                                    // 00000001B524: BF800000
	v_cndmask_b32_e64 v130, v64, v130, s[40:41]                // 00000001B528: D1000082 00A30540
	v_cmp_lt_u32_e64 s[40:41], v243, v65                       // 00000001B530: D0C90028 000283F3
	v_add_u32_e32 v243, 64, v243                               // 00000001B538: 69E7E6C0
	s_nop 0                                                    // 00000001B53C: BF800000
	v_cndmask_b32_e64 v131, v64, v131, s[40:41]                // 00000001B540: D1000083 00A30740
	v_cmp_lt_u32_e64 s[40:41], v240, v65                       // 00000001B548: D0C90028 000283F0
	v_add_u32_e32 v240, 64, v240                               // 00000001B550: 69E1E0C0
	s_nop 0                                                    // 00000001B554: BF800000
	v_cndmask_b32_e64 v132, v64, v132, s[40:41]                // 00000001B558: D1000084 00A30940
	v_cmp_lt_u32_e64 s[40:41], v241, v65                       // 00000001B560: D0C90028 000283F1
	v_add_u32_e32 v241, 64, v241                               // 00000001B568: 69E3E2C0
	s_nop 0                                                    // 00000001B56C: BF800000
	v_cndmask_b32_e64 v133, v64, v133, s[40:41]                // 00000001B570: D1000085 00A30B40
	v_cmp_lt_u32_e64 s[40:41], v242, v65                       // 00000001B578: D0C90028 000283F2
	v_add_u32_e32 v242, 64, v242                               // 00000001B580: 69E5E4C0
	s_nop 0                                                    // 00000001B584: BF800000
	v_cndmask_b32_e64 v134, v64, v134, s[40:41]                // 00000001B588: D1000086 00A30D40
	v_cmp_lt_u32_e64 s[40:41], v243, v65                       // 00000001B590: D0C90028 000283F3
	v_add_u32_e32 v243, 64, v243                               // 00000001B598: 69E7E6C0
	s_nop 0                                                    // 00000001B59C: BF800000
	v_cndmask_b32_e64 v135, v64, v135, s[40:41]                // 00000001B5A0: D1000087 00A30F40
	v_cmp_lt_u32_e64 s[40:41], v240, v65                       // 00000001B5A8: D0C90028 000283F0
	v_add_u32_e32 v240, 64, v240                               // 00000001B5B0: 69E1E0C0
	s_nop 0                                                    // 00000001B5B4: BF800000
	v_cndmask_b32_e64 v136, v64, v136, s[40:41]                // 00000001B5B8: D1000088 00A31140
	v_cmp_lt_u32_e64 s[40:41], v241, v65                       // 00000001B5C0: D0C90028 000283F1
	v_add_u32_e32 v241, 64, v241                               // 00000001B5C8: 69E3E2C0
	s_nop 0                                                    // 00000001B5CC: BF800000
	v_cndmask_b32_e64 v137, v64, v137, s[40:41]                // 00000001B5D0: D1000089 00A31340
	v_cmp_lt_u32_e64 s[40:41], v242, v65                       // 00000001B5D8: D0C90028 000283F2
	v_add_u32_e32 v242, 64, v242                               // 00000001B5E0: 69E5E4C0
	s_nop 0                                                    // 00000001B5E4: BF800000
	v_cndmask_b32_e64 v138, v64, v138, s[40:41]                // 00000001B5E8: D100008A 00A31540
	v_cmp_lt_u32_e64 s[40:41], v243, v65                       // 00000001B5F0: D0C90028 000283F3
	v_add_u32_e32 v243, 64, v243                               // 00000001B5F8: 69E7E6C0
	s_nop 0                                                    // 00000001B5FC: BF800000
	v_cndmask_b32_e64 v139, v64, v139, s[40:41]                // 00000001B600: D100008B 00A31740
	v_cmp_lt_u32_e64 s[40:41], v240, v65                       // 00000001B608: D0C90028 000283F0
	v_add_u32_e32 v240, 64, v240                               // 00000001B610: 69E1E0C0
	s_nop 0                                                    // 00000001B614: BF800000
	v_cndmask_b32_e64 v140, v64, v140, s[40:41]                // 00000001B618: D100008C 00A31940
	v_cmp_lt_u32_e64 s[40:41], v241, v65                       // 00000001B620: D0C90028 000283F1
	v_add_u32_e32 v241, 64, v241                               // 00000001B628: 69E3E2C0
	s_nop 0                                                    // 00000001B62C: BF800000
	v_cndmask_b32_e64 v141, v64, v141, s[40:41]                // 00000001B630: D100008D 00A31B40
	v_cmp_lt_u32_e64 s[40:41], v242, v65                       // 00000001B638: D0C90028 000283F2
	v_add_u32_e32 v242, 64, v242                               // 00000001B640: 69E5E4C0
	s_nop 0                                                    // 00000001B644: BF800000
	v_cndmask_b32_e64 v142, v64, v142, s[40:41]                // 00000001B648: D100008E 00A31D40
	v_cmp_lt_u32_e64 s[40:41], v243, v65                       // 00000001B650: D0C90028 000283F3
	v_add_u32_e32 v243, 64, v243                               // 00000001B658: 69E7E6C0
	s_nop 0                                                    // 00000001B65C: BF800000
	v_cndmask_b32_e64 v143, v64, v143, s[40:41]                // 00000001B660: D100008F 00A31F40
	v_mov_b32_e32 v48, v128                                    // 00000001B668: 7E600380
	v_max3_f32 v48, v128, v129, v48                            // 00000001B66C: D1D30030 04C30380
	v_max3_f32 v48, v130, v131, v48                            // 00000001B674: D1D30030 04C30782
	v_max3_f32 v48, v132, v133, v48                            // 00000001B67C: D1D30030 04C30B84
	v_max3_f32 v48, v134, v135, v48                            // 00000001B684: D1D30030 04C30F86
	v_max3_f32 v48, v136, v137, v48                            // 00000001B68C: D1D30030 04C31388
	v_max3_f32 v48, v138, v139, v48                            // 00000001B694: D1D30030 04C3178A
	v_max3_f32 v48, v140, v141, v48                            // 00000001B69C: D1D30030 04C31B8C
	v_max3_f32 v48, v142, v143, v48                            // 00000001B6A4: D1D30030 04C31F8E
	ds_write_b32 v8, v48 offset:16896                          // 00000001B6AC: D81A4200 00003008
	v_mul_f32_e32 v216, v50, v216                              // 00000001B6B4: 0BB1B132
	v_mul_f32_e32 v217, v50, v217                              // 00000001B6B8: 0BB3B332
	v_mul_f32_e32 v218, v50, v218                              // 00000001B6BC: 0BB5B532
	v_mul_f32_e32 v219, v50, v219                              // 00000001B6C0: 0BB7B732
	v_mul_f32_e32 v220, v50, v220                              // 00000001B6C4: 0BB9B932
	v_mul_f32_e32 v221, v50, v221                              // 00000001B6C8: 0BBBBB32
	v_mul_f32_e32 v222, v50, v222                              // 00000001B6CC: 0BBDBD32
	v_mul_f32_e32 v223, v50, v223                              // 00000001B6D0: 0BBFBF32
	s_waitcnt lgkmcnt(0)                                       // 00000001B6D4: BF8CC07F
	s_barrier                                                  // 00000001B6D8: BF8A0000
	ds_read_b32 v64, v7 offset:16896                           // 00000001B6DC: D86C4200 40000007
	ds_read_b32 v65, v7 offset:16960                           // 00000001B6E4: D86C4240 41000007
	ds_read_b32 v66, v7 offset:17024                           // 00000001B6EC: D86C4280 42000007
	ds_read_b32 v67, v7 offset:17088                           // 00000001B6F4: D86C42C0 43000007
	ds_read_b32 v68, v7 offset:17152                           // 00000001B6FC: D86C4300 44000007
	ds_read_b32 v69, v7 offset:17216                           // 00000001B704: D86C4340 45000007
	ds_read_b32 v70, v7 offset:17280                           // 00000001B70C: D86C4380 46000007
	ds_read_b32 v71, v7 offset:17344                           // 00000001B714: D86C43C0 47000007
	ds_read_b32 v72, v7 offset:17408                           // 00000001B71C: D86C4400 48000007
	ds_read_b32 v73, v7 offset:17472                           // 00000001B724: D86C4440 49000007
	ds_read_b32 v74, v7 offset:17536                           // 00000001B72C: D86C4480 4A000007
	ds_read_b32 v75, v7 offset:17600                           // 00000001B734: D86C44C0 4B000007
	ds_read_b32 v76, v7 offset:17664                           // 00000001B73C: D86C4500 4C000007
	ds_read_b32 v77, v7 offset:17728                           // 00000001B744: D86C4540 4D000007
	ds_read_b32 v78, v7 offset:17792                           // 00000001B74C: D86C4580 4E000007
	ds_read_b32 v79, v7 offset:17856                           // 00000001B754: D86C45C0 4F000007
	v_mul_f32_e32 v184, v45, v184                              // 00000001B75C: 0B71712D
	v_mul_f32_e32 v185, v45, v185                              // 00000001B760: 0B73732D
	v_mul_f32_e32 v186, v45, v186                              // 00000001B764: 0B75752D
	v_mul_f32_e32 v187, v45, v187                              // 00000001B768: 0B77772D
	v_mul_f32_e32 v188, v45, v188                              // 00000001B76C: 0B79792D
	v_mul_f32_e32 v189, v45, v189                              // 00000001B770: 0B7B7B2D
	v_mul_f32_e32 v190, v45, v190                              // 00000001B774: 0B7D7D2D
	v_mul_f32_e32 v191, v45, v191                              // 00000001B778: 0B7F7F2D
	s_waitcnt lgkmcnt(0)                                       // 00000001B77C: BF8CC07F
	v_max3_f32 v48, v64, v65, v48                              // 00000001B780: D1D30030 04C28340
	v_max3_f32 v48, v66, v67, v48                              // 00000001B788: D1D30030 04C28742
	v_max3_f32 v48, v68, v69, v48                              // 00000001B790: D1D30030 04C28B44
	v_max3_f32 v48, v70, v71, v48                              // 00000001B798: D1D30030 04C28F46
	v_max3_f32 v48, v72, v73, v48                              // 00000001B7A0: D1D30030 04C29348
	v_max3_f32 v48, v74, v75, v48                              // 00000001B7A8: D1D30030 04C2974A
	v_max3_f32 v48, v76, v77, v48                              // 00000001B7B0: D1D30030 04C29B4C
	v_max3_f32 v48, v78, v79, v48                              // 00000001B7B8: D1D30030 04C29F4E
	v_mov_b32_e32 v64, 0xff800000                              // 00000001B7C0: 7E8002FF FF800000
	v_cmp_eq_u32_e64 s[40:41], v64, v12                        // 00000001B7C8: D0CA0028 00021940
	s_nop 1                                                    // 00000001B7D0: BF800001
	v_max_f32_e32 v15, v48, v12                                // 00000001B7D4: 161E1930
	v_mul_f32_e32 v53, s64, v15                                // 00000001B7D8: 0A6A1E40
	v_fma_f32 v128, v128, s64, -v53                            // 00000001B7DC: D1CB0080 84D48180
	v_fma_f32 v129, v129, s64, -v53                            // 00000001B7E4: D1CB0081 84D48181
	v_fma_f32 v130, v130, s64, -v53                            // 00000001B7EC: D1CB0082 84D48182
	v_fma_f32 v131, v131, s64, -v53                            // 00000001B7F4: D1CB0083 84D48183
	v_fma_f32 v132, v132, s64, -v53                            // 00000001B7FC: D1CB0084 84D48184
	v_fma_f32 v133, v133, s64, -v53                            // 00000001B804: D1CB0085 84D48185
	v_fma_f32 v134, v134, s64, -v53                            // 00000001B80C: D1CB0086 84D48186
	v_fma_f32 v135, v135, s64, -v53                            // 00000001B814: D1CB0087 84D48187
	v_fma_f32 v136, v136, s64, -v53                            // 00000001B81C: D1CB0088 84D48188
	v_fma_f32 v137, v137, s64, -v53                            // 00000001B824: D1CB0089 84D48189
	v_fma_f32 v138, v138, s64, -v53                            // 00000001B82C: D1CB008A 84D4818A
	v_fma_f32 v139, v139, s64, -v53                            // 00000001B834: D1CB008B 84D4818B
	v_fma_f32 v140, v140, s64, -v53                            // 00000001B83C: D1CB008C 84D4818C
	v_fma_f32 v141, v141, s64, -v53                            // 00000001B844: D1CB008D 84D4818D
	v_fma_f32 v142, v142, s64, -v53                            // 00000001B84C: D1CB008E 84D4818E
	v_fma_f32 v143, v143, s64, -v53                            // 00000001B854: D1CB008F 84D4818F
	v_exp_f32_e32 v128, v128                                   // 00000001B85C: 7F004180
	v_exp_f32_e32 v129, v129                                   // 00000001B860: 7F024181
	v_exp_f32_e32 v130, v130                                   // 00000001B864: 7F044182
	v_exp_f32_e32 v131, v131                                   // 00000001B868: 7F064183
	v_exp_f32_e32 v132, v132                                   // 00000001B86C: 7F084184
	v_exp_f32_e32 v133, v133                                   // 00000001B870: 7F0A4185
	v_exp_f32_e32 v134, v134                                   // 00000001B874: 7F0C4186
	v_exp_f32_e32 v135, v135                                   // 00000001B878: 7F0E4187
	v_exp_f32_e32 v136, v136                                   // 00000001B87C: 7F104188
	v_exp_f32_e32 v137, v137                                   // 00000001B880: 7F124189
	v_exp_f32_e32 v138, v138                                   // 00000001B884: 7F14418A
	v_exp_f32_e32 v139, v139                                   // 00000001B888: 7F16418B
	v_exp_f32_e32 v140, v140                                   // 00000001B88C: 7F18418C
	v_exp_f32_e32 v141, v141                                   // 00000001B890: 7F1A418D
	v_exp_f32_e32 v142, v142                                   // 00000001B894: 7F1C418E
	v_exp_f32_e32 v143, v143                                   // 00000001B898: 7F1E418F
	v_mul_f32_dpp v240, v252, v128 quad_perm:[0,0,0,0] row_mask:0xf bank_mask:0xf// 00000001B89C: 0BE100FA FF0000FC
	v_mul_f32_dpp v241, v252, v129 quad_perm:[1,1,1,1] row_mask:0xf bank_mask:0xf// 00000001B8A4: 0BE302FA FF0055FC
	v_mul_f32_dpp v242, v252, v130 quad_perm:[2,2,2,2] row_mask:0xf bank_mask:0xf// 00000001B8AC: 0BE504FA FF00AAFC
	v_mul_f32_dpp v243, v252, v131 quad_perm:[3,3,3,3] row_mask:0xf bank_mask:0xf// 00000001B8B4: 0BE706FA FF00FFFC
	v_mul_f32_dpp v244, v253, v132 quad_perm:[0,0,0,0] row_mask:0xf bank_mask:0xf// 00000001B8BC: 0BE908FA FF0000FD
	v_mul_f32_dpp v245, v253, v133 quad_perm:[1,1,1,1] row_mask:0xf bank_mask:0xf// 00000001B8C4: 0BEB0AFA FF0055FD
	v_mul_f32_dpp v246, v253, v134 quad_perm:[2,2,2,2] row_mask:0xf bank_mask:0xf// 00000001B8CC: 0BED0CFA FF00AAFD
	v_mul_f32_dpp v247, v253, v135 quad_perm:[3,3,3,3] row_mask:0xf bank_mask:0xf// 00000001B8D4: 0BEF0EFA FF00FFFD
	v_mul_f32_dpp v248, v254, v136 quad_perm:[0,0,0,0] row_mask:0xf bank_mask:0xf// 00000001B8DC: 0BF110FA FF0000FE
	v_mul_f32_dpp v249, v254, v137 quad_perm:[1,1,1,1] row_mask:0xf bank_mask:0xf// 00000001B8E4: 0BF312FA FF0055FE
	v_mul_f32_dpp v250, v254, v138 quad_perm:[2,2,2,2] row_mask:0xf bank_mask:0xf// 00000001B8EC: 0BF514FA FF00AAFE
	v_mul_f32_dpp v251, v254, v139 quad_perm:[3,3,3,3] row_mask:0xf bank_mask:0xf// 00000001B8F4: 0BF716FA FF00FFFE
	v_mul_f32_dpp v252, v255, v140 quad_perm:[0,0,0,0] row_mask:0xf bank_mask:0xf// 00000001B8FC: 0BF918FA FF0000FF
	v_mul_f32_dpp v253, v255, v141 quad_perm:[1,1,1,1] row_mask:0xf bank_mask:0xf// 00000001B904: 0BFB1AFA FF0055FF
	v_mul_f32_dpp v254, v255, v142 quad_perm:[2,2,2,2] row_mask:0xf bank_mask:0xf// 00000001B90C: 0BFD1CFA FF00AAFF
	v_mul_f32_dpp v255, v255, v143 quad_perm:[3,3,3,3] row_mask:0xf bank_mask:0xf// 00000001B914: 0BFF1EFA FF00FFFF
	v_mov_b32_e32 v48, 0x358637bd                              // 00000001B91C: 7E6002FF 358637BD
	v_max3_f32 v48, |v240|, |v241|, v48                        // 00000001B924: D1D30330 04C3E3F0
	v_max3_f32 v48, |v242|, |v243|, v48                        // 00000001B92C: D1D30330 04C3E7F2
	v_max3_f32 v48, |v244|, |v245|, v48                        // 00000001B934: D1D30330 04C3EBF4
	v_max3_f32 v48, |v246|, |v247|, v48                        // 00000001B93C: D1D30330 04C3EFF6
	v_max3_f32 v48, |v248|, |v249|, v48                        // 00000001B944: D1D30330 04C3F3F8
	v_max3_f32 v48, |v250|, |v251|, v48                        // 00000001B94C: D1D30330 04C3F7FA
	v_max3_f32 v48, |v252|, |v253|, v48                        // 00000001B954: D1D30330 04C3FBFC
	v_max3_f32 v48, |v254|, |v255|, v48                        // 00000001B95C: D1D30330 04C3FFFE
	ds_write_b32 v8, v48 offset:20992                          // 00000001B964: D81A5200 00003008
	v_sub_f32_e32 v50, v12, v15                                // 00000001B96C: 04641F0C
	v_cndmask_b32_e64 v50, v50, 0, s[40:41]                    // 00000001B970: D1000032 00A10132
	v_mov_b32_e32 v12, v15                                     // 00000001B978: 7E18030F
	v_mul_f32_e32 v50, s64, v50                                // 00000001B97C: 0A646440
	v_exp_f32_e32 v50, v50                                     // 00000001B980: 7E644132
	s_waitcnt lgkmcnt(0)                                       // 00000001B984: BF8CC07F
	s_barrier                                                  // 00000001B988: BF8A0000
	ds_read_b32 v64, v7 offset:20992                           // 00000001B98C: D86C5200 40000007
	ds_read_b32 v65, v7 offset:21056                           // 00000001B994: D86C5240 41000007
	ds_read_b32 v66, v7 offset:21120                           // 00000001B99C: D86C5280 42000007
	ds_read_b32 v67, v7 offset:21184                           // 00000001B9A4: D86C52C0 43000007
	ds_read_b32 v68, v7 offset:21248                           // 00000001B9AC: D86C5300 44000007
	ds_read_b32 v69, v7 offset:21312                           // 00000001B9B4: D86C5340 45000007
	ds_read_b32 v70, v7 offset:21376                           // 00000001B9BC: D86C5380 46000007
	ds_read_b32 v71, v7 offset:21440                           // 00000001B9C4: D86C53C0 47000007
	ds_read_b32 v72, v7 offset:21504                           // 00000001B9CC: D86C5400 48000007
	ds_read_b32 v73, v7 offset:21568                           // 00000001B9D4: D86C5440 49000007
	ds_read_b32 v74, v7 offset:21632                           // 00000001B9DC: D86C5480 4A000007
	ds_read_b32 v75, v7 offset:21696                           // 00000001B9E4: D86C54C0 4B000007
	ds_read_b32 v76, v7 offset:21760                           // 00000001B9EC: D86C5500 4C000007
	ds_read_b32 v77, v7 offset:21824                           // 00000001B9F4: D86C5540 4D000007
	ds_read_b32 v78, v7 offset:21888                           // 00000001B9FC: D86C5580 4E000007
	ds_read_b32 v79, v7 offset:21952                           // 00000001BA04: D86C55C0 4F000007
	v_mul_f32_e32 v39, v50, v39                                // 00000001BA0C: 0A4E4F32
	v_mov_b32_e32 v15, v128                                    // 00000001BA10: 7E1E0380
	v_add_f32_e32 v15, v129, v15                               // 00000001BA14: 021E1F81
	v_add_f32_e32 v15, v130, v15                               // 00000001BA18: 021E1F82
	v_add_f32_e32 v15, v131, v15                               // 00000001BA1C: 021E1F83
	v_add_f32_e32 v15, v132, v15                               // 00000001BA20: 021E1F84
	v_add_f32_e32 v15, v133, v15                               // 00000001BA24: 021E1F85
	v_add_f32_e32 v15, v134, v15                               // 00000001BA28: 021E1F86
	v_add_f32_e32 v15, v135, v15                               // 00000001BA2C: 021E1F87
	v_add_f32_e32 v15, v136, v15                               // 00000001BA30: 021E1F88
	v_add_f32_e32 v15, v137, v15                               // 00000001BA34: 021E1F89
	v_add_f32_e32 v15, v138, v15                               // 00000001BA38: 021E1F8A
	v_add_f32_e32 v15, v139, v15                               // 00000001BA3C: 021E1F8B
	v_add_f32_e32 v15, v140, v15                               // 00000001BA40: 021E1F8C
	v_add_f32_e32 v15, v141, v15                               // 00000001BA44: 021E1F8D
	v_add_f32_e32 v15, v142, v15                               // 00000001BA48: 021E1F8E
	v_add_f32_e32 v15, v143, v15                               // 00000001BA4C: 021E1F8F
	v_add_f32_e32 v39, v15, v39                                // 00000001BA50: 024E4F0F
	s_waitcnt lgkmcnt(0)                                       // 00000001BA54: BF8CC07F
	v_max3_f32 v48, |v64|, |v65|, v48                          // 00000001BA58: D1D30330 04C28340
	v_max3_f32 v48, |v66|, |v67|, v48                          // 00000001BA60: D1D30330 04C28742
	v_max3_f32 v48, |v68|, |v69|, v48                          // 00000001BA68: D1D30330 04C28B44
	v_max3_f32 v48, |v70|, |v71|, v48                          // 00000001BA70: D1D30330 04C28F46
	v_max3_f32 v48, |v72|, |v73|, v48                          // 00000001BA78: D1D30330 04C29348
	v_max3_f32 v48, |v74|, |v75|, v48                          // 00000001BA80: D1D30330 04C2974A
	v_max3_f32 v48, |v76|, |v77|, v48                          // 00000001BA88: D1D30330 04C29B4C
	v_max3_f32 v48, |v78|, |v79|, v48                          // 00000001BA90: D1D30330 04C29F4E
	s_nop 2                                                    // 00000001BA98: BF800002
	v_rcp_f32_e32 v48, v48                                     // 00000001BA9C: 7E604530
	s_nop 1                                                    // 00000001BAA0: BF800001
	v_mul_f32_e32 v48, 0x43700000, v48                         // 00000001BAA4: 0A6060FF 43700000
	v_mul_f32_e32 v128, v48, v240                              // 00000001BAAC: 0B01E130
	v_mul_f32_e32 v129, v48, v241                              // 00000001BAB0: 0B03E330
	v_mul_f32_e32 v130, v48, v242                              // 00000001BAB4: 0B05E530
	v_mul_f32_e32 v131, v48, v243                              // 00000001BAB8: 0B07E730
	v_mul_f32_e32 v132, v48, v244                              // 00000001BABC: 0B09E930
	v_mul_f32_e32 v133, v48, v245                              // 00000001BAC0: 0B0BEB30
	v_mul_f32_e32 v134, v48, v246                              // 00000001BAC4: 0B0DED30
	v_mul_f32_e32 v135, v48, v247                              // 00000001BAC8: 0B0FEF30
	v_mul_f32_e32 v136, v48, v248                              // 00000001BACC: 0B11F130
	v_mul_f32_e32 v137, v48, v249                              // 00000001BAD0: 0B13F330
	v_mul_f32_e32 v138, v48, v250                              // 00000001BAD4: 0B15F530
	v_mul_f32_e32 v139, v48, v251                              // 00000001BAD8: 0B17F730
	v_mul_f32_e32 v140, v48, v252                              // 00000001BADC: 0B19F930
	v_mul_f32_e32 v141, v48, v253                              // 00000001BAE0: 0B1BFB30
	v_mul_f32_e32 v142, v48, v254                              // 00000001BAE4: 0B1DFD30
	v_mul_f32_e32 v143, v48, v255                              // 00000001BAE8: 0B1FFF30
	v_cvt_pk_fp8_f32 v128, v128, v129                          // 00000001BAEC: D2A20080 00030380
	v_cvt_pk_fp8_f32 v128, v130, v131 op_sel:[0,0,1]           // 00000001BAF4: D2A24080 00030782
	v_cvt_pk_fp8_f32 v129, v132, v133                          // 00000001BAFC: D2A20081 00030B84
	v_cvt_pk_fp8_f32 v129, v134, v135 op_sel:[0,0,1]           // 00000001BB04: D2A24081 00030F86
	v_cvt_pk_fp8_f32 v130, v136, v137                          // 00000001BB0C: D2A20082 00031388
	v_cvt_pk_fp8_f32 v130, v138, v139 op_sel:[0,0,1]           // 00000001BB14: D2A24082 0003178A
	v_cvt_pk_fp8_f32 v131, v140, v141                          // 00000001BB1C: D2A20083 00031B8C
	v_cvt_pk_fp8_f32 v131, v142, v143 op_sel:[0,0,1]           // 00000001BB24: D2A24083 00031F8E
	ds_write_b32 v10, v128 offset:29184                        // 00000001BB2C: D81A7200 0000800A
	ds_write_b32 v10, v129 offset:30208                        // 00000001BB34: D81A7600 0000810A
	ds_write_b32 v10, v130 offset:31232                        // 00000001BB3C: D81A7A00 0000820A
	ds_write_b32 v10, v131 offset:32256                        // 00000001BB44: D81A7E00 0000830A
	v_add_f32_e32 v216, v216, v184                             // 00000001BB4C: 03B171D8
	v_add_f32_e32 v217, v217, v185                             // 00000001BB50: 03B373D9
	v_add_f32_e32 v218, v218, v186                             // 00000001BB54: 03B575DA
	v_add_f32_e32 v219, v219, v187                             // 00000001BB58: 03B777DB
	v_add_f32_e32 v220, v220, v188                             // 00000001BB5C: 03B979DC
	v_add_f32_e32 v221, v221, v189                             // 00000001BB60: 03BB7BDD
	v_add_f32_e32 v222, v222, v190                             // 00000001BB64: 03BD7DDE
	v_add_f32_e32 v223, v223, v191                             // 00000001BB68: 03BF7FDF
	v_rcp_f32_e32 v45, v48                                     // 00000001BB6C: 7E5A4530
	s_waitcnt lgkmcnt(0)                                       // 00000001BB70: BF8CC07F
	s_barrier                                                  // 00000001BB74: BF8A0000
	ds_read_b64 v[128:129], v9 offset:29184                    // 00000001BB78: D8EC7200 80000009
	ds_read_b64 v[130:131], v9 offset:29312                    // 00000001BB80: D8EC7280 82000009
	ds_read_b64 v[132:133], v9 offset:30208                    // 00000001BB88: D8EC7600 84000009
	ds_read_b64 v[134:135], v9 offset:30336                    // 00000001BB90: D8EC7680 86000009
	ds_read_b64 v[136:137], v9 offset:31232                    // 00000001BB98: D8EC7A00 88000009
	ds_read_b64 v[138:139], v9 offset:31360                    // 00000001BBA0: D8EC7A80 8A000009
	ds_read_b64 v[140:141], v9 offset:32256                    // 00000001BBA8: D8EC7E00 8C000009
	ds_read_b64 v[142:143], v9 offset:32384                    // 00000001BBB0: D8EC7E80 8E000009
	v_mov_b32_dpp v64, v43 row_shr:4 row_mask:0xf bank_mask:0xf// 00000001BBB8: 7E8002FA FF01142B
	v_mov_b32_dpp v65, v43 row_shl:4 row_mask:0xf bank_mask:0xf// 00000001BBC0: 7E8202FA FF01042B
	v_cndmask_b32_e64 v248, v43, v64, s[44:45]                 // 00000001BBC8: D10000F8 00B2812B
	v_cndmask_b32_e64 v249, v65, v43, s[44:45]                 // 00000001BBD0: D10000F9 00B25741
	v_mov_b32_dpp v64, v248 row_shr:8 row_mask:0xf bank_mask:0xf// 00000001BBD8: 7E8002FA FF0118F8
	v_mov_b32_dpp v65, v248 row_shl:8 row_mask:0xf bank_mask:0xf// 00000001BBE0: 7E8202FA FF0108F8
	v_mov_b32_dpp v66, v249 row_shr:8 row_mask:0xf bank_mask:0xf// 00000001BBE8: 7E8402FA FF0118F9
	v_mov_b32_dpp v67, v249 row_shl:8 row_mask:0xf bank_mask:0xf// 00000001BBF0: 7E8602FA FF0108F9
	v_mov_b32_e32 v68, v248                                    // 00000001BBF8: 7E8803F8
	v_mov_b32_e32 v69, v249                                    // 00000001BBFC: 7E8A03F9
	v_cndmask_b32_e64 v248, v68, v64, s[42:43]                 // 00000001BC00: D10000F8 00AA8144
	v_cndmask_b32_e64 v250, v68, v65, s[78:79]                 // 00000001BC08: D10000FA 013A8344
	v_cndmask_b32_e64 v249, v69, v66, s[42:43]                 // 00000001BC10: D10000F9 00AA8545
	v_cndmask_b32_e64 v251, v69, v67, s[78:79]                 // 00000001BC18: D10000FB 013A8745
	v_mov_b32_dpp v64, v58 row_shr:4 row_mask:0xf bank_mask:0xf// 00000001BC20: 7E8002FA FF01143A
	v_mov_b32_dpp v65, v58 row_shl:4 row_mask:0xf bank_mask:0xf// 00000001BC28: 7E8202FA FF01043A
	v_cndmask_b32_e64 v252, v58, v64, s[44:45]                 // 00000001BC30: D10000FC 00B2813A
	v_cndmask_b32_e64 v253, v65, v58, s[44:45]                 // 00000001BC38: D10000FD 00B27541
	v_mov_b32_dpp v64, v252 row_shr:8 row_mask:0xf bank_mask:0xf// 00000001BC40: 7E8002FA FF0118FC
	v_mov_b32_dpp v65, v252 row_shl:8 row_mask:0xf bank_mask:0xf// 00000001BC48: 7E8202FA FF0108FC
	v_mov_b32_dpp v66, v253 row_shr:8 row_mask:0xf bank_mask:0xf// 00000001BC50: 7E8402FA FF0118FD
	v_mov_b32_dpp v67, v253 row_shl:8 row_mask:0xf bank_mask:0xf// 00000001BC58: 7E8602FA FF0108FD
	v_mov_b32_e32 v68, v252                                    // 00000001BC60: 7E8803FC
	v_mov_b32_e32 v69, v253                                    // 00000001BC64: 7E8A03FD
	v_cndmask_b32_e64 v252, v68, v64, s[42:43]                 // 00000001BC68: D10000FC 00AA8144
	v_cndmask_b32_e64 v254, v68, v65, s[78:79]                 // 00000001BC70: D10000FE 013A8344
	v_cndmask_b32_e64 v253, v69, v66, s[42:43]                 // 00000001BC78: D10000FD 00AA8545
	v_cndmask_b32_e64 v255, v69, v67, s[78:79]                 // 00000001BC80: D10000FF 013A8745
	v_mul_f32_e32 v144, v20, v144                              // 00000001BC88: 0B212114
	v_mul_f32_e32 v145, v20, v145                              // 00000001BC8C: 0B232314
	v_mul_f32_e32 v146, v20, v146                              // 00000001BC90: 0B252514
	v_mul_f32_e32 v147, v20, v147                              // 00000001BC94: 0B272714
	v_mul_f32_e32 v148, v20, v148                              // 00000001BC98: 0B292914
	v_mul_f32_e32 v149, v20, v149                              // 00000001BC9C: 0B2B2B14
	v_mul_f32_e32 v150, v20, v150                              // 00000001BCA0: 0B2D2D14
	v_mul_f32_e32 v151, v20, v151                              // 00000001BCA4: 0B2F2F14
	v_mul_f32_e32 v152, v20, v152                              // 00000001BCA8: 0B313114
	v_mul_f32_e32 v153, v20, v153                              // 00000001BCAC: 0B333314
	v_mul_f32_e32 v154, v20, v154                              // 00000001BCB0: 0B353514
	v_mul_f32_e32 v155, v20, v155                              // 00000001BCB4: 0B373714
	v_mul_f32_e32 v156, v20, v156                              // 00000001BCB8: 0B393914
	v_mul_f32_e32 v157, v20, v157                              // 00000001BCBC: 0B3B3B14
	v_mul_f32_e32 v158, v20, v158                              // 00000001BCC0: 0B3D3D14
	v_mul_f32_e32 v159, v20, v159                              // 00000001BCC4: 0B3F3F14
	v_mul_f32_dpp v144, v248, v144 quad_perm:[0,0,0,0] row_mask:0xf bank_mask:0xf// 00000001BCC8: 0B2120FA FF0000F8
	v_mul_f32_dpp v145, v248, v145 quad_perm:[1,1,1,1] row_mask:0xf bank_mask:0xf// 00000001BCD0: 0B2322FA FF0055F8
	v_mul_f32_dpp v146, v248, v146 quad_perm:[2,2,2,2] row_mask:0xf bank_mask:0xf// 00000001BCD8: 0B2524FA FF00AAF8
	v_mul_f32_dpp v147, v248, v147 quad_perm:[3,3,3,3] row_mask:0xf bank_mask:0xf// 00000001BCE0: 0B2726FA FF00FFF8
	v_mul_f32_dpp v148, v249, v148 quad_perm:[0,0,0,0] row_mask:0xf bank_mask:0xf// 00000001BCE8: 0B2928FA FF0000F9
	v_mul_f32_dpp v149, v249, v149 quad_perm:[1,1,1,1] row_mask:0xf bank_mask:0xf// 00000001BCF0: 0B2B2AFA FF0055F9
	v_mul_f32_dpp v150, v249, v150 quad_perm:[2,2,2,2] row_mask:0xf bank_mask:0xf// 00000001BCF8: 0B2D2CFA FF00AAF9
	v_mul_f32_dpp v151, v249, v151 quad_perm:[3,3,3,3] row_mask:0xf bank_mask:0xf// 00000001BD00: 0B2F2EFA FF00FFF9
	v_mul_f32_dpp v152, v250, v152 quad_perm:[0,0,0,0] row_mask:0xf bank_mask:0xf// 00000001BD08: 0B3130FA FF0000FA
	v_mul_f32_dpp v153, v250, v153 quad_perm:[1,1,1,1] row_mask:0xf bank_mask:0xf// 00000001BD10: 0B3332FA FF0055FA
	v_mul_f32_dpp v154, v250, v154 quad_perm:[2,2,2,2] row_mask:0xf bank_mask:0xf// 00000001BD18: 0B3534FA FF00AAFA
	v_mul_f32_dpp v155, v250, v155 quad_perm:[3,3,3,3] row_mask:0xf bank_mask:0xf// 00000001BD20: 0B3736FA FF00FFFA
	v_mul_f32_dpp v156, v251, v156 quad_perm:[0,0,0,0] row_mask:0xf bank_mask:0xf// 00000001BD28: 0B3938FA FF0000FB
	v_mul_f32_dpp v157, v251, v157 quad_perm:[1,1,1,1] row_mask:0xf bank_mask:0xf// 00000001BD30: 0B3B3AFA FF0055FB
	v_mul_f32_dpp v158, v251, v158 quad_perm:[2,2,2,2] row_mask:0xf bank_mask:0xf// 00000001BD38: 0B3D3CFA FF00AAFB
	v_mul_f32_dpp v159, v251, v159 quad_perm:[3,3,3,3] row_mask:0xf bank_mask:0xf// 00000001BD40: 0B3F3EFA FF00FFFB
	s_cmp_le_i32 s90, s89                                      // 00000001BD48: BF05595A
	s_cbranch_scc1 label_6745                                  // 00000001BD4C: BF850071
	v_mov_b32_e32 v66, 0xff800000                              // 00000001BD50: 7E8402FF FF800000
	s_mov_b32 s60, s90                                         // 00000001BD58: BEBC005A
	s_add_u32 s61, s89, 0xff                                   // 00000001BD5C: 803DFF59 000000FF
	v_mov_b32_e32 v64, s61                                     // 00000001BD64: 7E80023D
	v_lshrrev_b32_e32 v240, 4, v0                              // 00000001BD68: 21E00084
	v_mul_i32_i24_e32 v240, 4, v240                            // 00000001BD6C: 0DE1E084
	v_add_u32_e32 v240, s60, v240                              // 00000001BD70: 69E1E03C
	s_mov_b32 s61, 2                                           // 00000001BD74: BEBD0082
	s_mul_i32 s60, 16, s7                                      // 00000001BD78: 923C0790
	v_sub_u32_e64 v240, v240, s61                              // 00000001BD7C: D13500F0 00007BF0
	v_add_u32_e32 v240, s60, v240                              // 00000001BD84: 69E1E03C
	v_add_u32_e32 v241, 1, v240                                // 00000001BD88: 69E3E081
	v_add_u32_e32 v242, 2, v240                                // 00000001BD8C: 69E5E082
	v_add_u32_e32 v243, 3, v240                                // 00000001BD90: 69E7E083
	v_cmp_le_u32_e64 s[40:41], v240, v64                       // 00000001BD94: D0CB0028 000281F0
	v_add_u32_e32 v240, 64, v240                               // 00000001BD9C: 69E1E0C0
	s_nop 0                                                    // 00000001BDA0: BF800000
	v_cndmask_b32_e64 v144, v66, v144, s[40:41]                // 00000001BDA4: D1000090 00A32142
	v_cmp_le_u32_e64 s[40:41], v241, v64                       // 00000001BDAC: D0CB0028 000281F1
	v_add_u32_e32 v241, 64, v241                               // 00000001BDB4: 69E3E2C0
	s_nop 0                                                    // 00000001BDB8: BF800000
	v_cndmask_b32_e64 v145, v66, v145, s[40:41]                // 00000001BDBC: D1000091 00A32342
	v_cmp_le_u32_e64 s[40:41], v242, v64                       // 00000001BDC4: D0CB0028 000281F2
	v_add_u32_e32 v242, 64, v242                               // 00000001BDCC: 69E5E4C0
	s_nop 0                                                    // 00000001BDD0: BF800000
	v_cndmask_b32_e64 v146, v66, v146, s[40:41]                // 00000001BDD4: D1000092 00A32542
	v_cmp_le_u32_e64 s[40:41], v243, v64                       // 00000001BDDC: D0CB0028 000281F3
	v_add_u32_e32 v243, 64, v243                               // 00000001BDE4: 69E7E6C0
	s_nop 0                                                    // 00000001BDE8: BF800000
	v_cndmask_b32_e64 v147, v66, v147, s[40:41]                // 00000001BDEC: D1000093 00A32742
	v_cmp_le_u32_e64 s[40:41], v240, v64                       // 00000001BDF4: D0CB0028 000281F0
	v_add_u32_e32 v240, 64, v240                               // 00000001BDFC: 69E1E0C0
	s_nop 0                                                    // 00000001BE00: BF800000
	v_cndmask_b32_e64 v148, v66, v148, s[40:41]                // 00000001BE04: D1000094 00A32942
	v_cmp_le_u32_e64 s[40:41], v241, v64                       // 00000001BE0C: D0CB0028 000281F1
	v_add_u32_e32 v241, 64, v241                               // 00000001BE14: 69E3E2C0
	s_nop 0                                                    // 00000001BE18: BF800000
	v_cndmask_b32_e64 v149, v66, v149, s[40:41]                // 00000001BE1C: D1000095 00A32B42
	v_cmp_le_u32_e64 s[40:41], v242, v64                       // 00000001BE24: D0CB0028 000281F2
	v_add_u32_e32 v242, 64, v242                               // 00000001BE2C: 69E5E4C0
	s_nop 0                                                    // 00000001BE30: BF800000
	v_cndmask_b32_e64 v150, v66, v150, s[40:41]                // 00000001BE34: D1000096 00A32D42
	v_cmp_le_u32_e64 s[40:41], v243, v64                       // 00000001BE3C: D0CB0028 000281F3
	v_add_u32_e32 v243, 64, v243                               // 00000001BE44: 69E7E6C0
	s_nop 0                                                    // 00000001BE48: BF800000
	v_cndmask_b32_e64 v151, v66, v151, s[40:41]                // 00000001BE4C: D1000097 00A32F42
	v_cmp_le_u32_e64 s[40:41], v240, v64                       // 00000001BE54: D0CB0028 000281F0
	v_add_u32_e32 v240, 64, v240                               // 00000001BE5C: 69E1E0C0
	s_nop 0                                                    // 00000001BE60: BF800000
	v_cndmask_b32_e64 v152, v66, v152, s[40:41]                // 00000001BE64: D1000098 00A33142
	v_cmp_le_u32_e64 s[40:41], v241, v64                       // 00000001BE6C: D0CB0028 000281F1
	v_add_u32_e32 v241, 64, v241                               // 00000001BE74: 69E3E2C0
	s_nop 0                                                    // 00000001BE78: BF800000
	v_cndmask_b32_e64 v153, v66, v153, s[40:41]                // 00000001BE7C: D1000099 00A33342
	v_cmp_le_u32_e64 s[40:41], v242, v64                       // 00000001BE84: D0CB0028 000281F2
	v_add_u32_e32 v242, 64, v242                               // 00000001BE8C: 69E5E4C0
	s_nop 0                                                    // 00000001BE90: BF800000
	v_cndmask_b32_e64 v154, v66, v154, s[40:41]                // 00000001BE94: D100009A 00A33542
	v_cmp_le_u32_e64 s[40:41], v243, v64                       // 00000001BE9C: D0CB0028 000281F3
	v_add_u32_e32 v243, 64, v243                               // 00000001BEA4: 69E7E6C0
	s_nop 0                                                    // 00000001BEA8: BF800000
	v_cndmask_b32_e64 v155, v66, v155, s[40:41]                // 00000001BEAC: D100009B 00A33742
	v_cmp_le_u32_e64 s[40:41], v240, v64                       // 00000001BEB4: D0CB0028 000281F0
	v_add_u32_e32 v240, 64, v240                               // 00000001BEBC: 69E1E0C0
	s_nop 0                                                    // 00000001BEC0: BF800000
	v_cndmask_b32_e64 v156, v66, v156, s[40:41]                // 00000001BEC4: D100009C 00A33942
	v_cmp_le_u32_e64 s[40:41], v241, v64                       // 00000001BECC: D0CB0028 000281F1
	v_add_u32_e32 v241, 64, v241                               // 00000001BED4: 69E3E2C0
	s_nop 0                                                    // 00000001BED8: BF800000
	v_cndmask_b32_e64 v157, v66, v157, s[40:41]                // 00000001BEDC: D100009D 00A33B42
	v_cmp_le_u32_e64 s[40:41], v242, v64                       // 00000001BEE4: D0CB0028 000281F2
	v_add_u32_e32 v242, 64, v242                               // 00000001BEEC: 69E5E4C0
	s_nop 0                                                    // 00000001BEF0: BF800000
	v_cndmask_b32_e64 v158, v66, v158, s[40:41]                // 00000001BEF4: D100009E 00A33D42
	v_cmp_le_u32_e64 s[40:41], v243, v64                       // 00000001BEFC: D0CB0028 000281F3
	v_add_u32_e32 v243, 64, v243                               // 00000001BF04: 69E7E6C0
	s_nop 0                                                    // 00000001BF08: BF800000
	v_cndmask_b32_e64 v159, v66, v159, s[40:41]                // 00000001BF0C: D100009F 00A33F42

000000000001bf14 <label_6745>:
	s_add_u32 s90, s91, s90                                    // 00000001BF14: 805A5A5B
	s_and_b32 s60, s72, 0xff                                   // 00000001BF18: 863CFF48 000000FF
	v_mov_b32_e32 v65, s60                                     // 00000001BF20: 7E82023C
	v_lshrrev_b32_e32 v240, 4, v0                              // 00000001BF24: 21E00084
	v_mul_i32_i24_e32 v240, 4, v240                            // 00000001BF28: 0DE1E084
	s_mul_i32 s60, s7, 16                                      // 00000001BF2C: 923C9007
	v_add_u32_e32 v240, s60, v240                              // 00000001BF30: 69E1E03C
	v_add_u32_e32 v241, 1, v240                                // 00000001BF34: 69E3E081
	v_add_u32_e32 v242, 2, v240                                // 00000001BF38: 69E5E082
	v_add_u32_e32 v243, 3, v240                                // 00000001BF3C: 69E7E083
	v_mov_b32_e32 v64, 0xff800000                              // 00000001BF40: 7E8002FF FF800000
	v_cmp_lt_u32_e64 s[40:41], v240, v65                       // 00000001BF48: D0C90028 000283F0
	v_add_u32_e32 v240, 64, v240                               // 00000001BF50: 69E1E0C0
	s_nop 0                                                    // 00000001BF54: BF800000
	v_cndmask_b32_e64 v144, v64, v144, s[40:41]                // 00000001BF58: D1000090 00A32140
	v_cmp_lt_u32_e64 s[40:41], v241, v65                       // 00000001BF60: D0C90028 000283F1
	v_add_u32_e32 v241, 64, v241                               // 00000001BF68: 69E3E2C0
	s_nop 0                                                    // 00000001BF6C: BF800000
	v_cndmask_b32_e64 v145, v64, v145, s[40:41]                // 00000001BF70: D1000091 00A32340
	v_cmp_lt_u32_e64 s[40:41], v242, v65                       // 00000001BF78: D0C90028 000283F2
	v_add_u32_e32 v242, 64, v242                               // 00000001BF80: 69E5E4C0
	s_nop 0                                                    // 00000001BF84: BF800000
	v_cndmask_b32_e64 v146, v64, v146, s[40:41]                // 00000001BF88: D1000092 00A32540
	v_cmp_lt_u32_e64 s[40:41], v243, v65                       // 00000001BF90: D0C90028 000283F3
	v_add_u32_e32 v243, 64, v243                               // 00000001BF98: 69E7E6C0
	s_nop 0                                                    // 00000001BF9C: BF800000
	v_cndmask_b32_e64 v147, v64, v147, s[40:41]                // 00000001BFA0: D1000093 00A32740
	v_cmp_lt_u32_e64 s[40:41], v240, v65                       // 00000001BFA8: D0C90028 000283F0
	v_add_u32_e32 v240, 64, v240                               // 00000001BFB0: 69E1E0C0
	s_nop 0                                                    // 00000001BFB4: BF800000
	v_cndmask_b32_e64 v148, v64, v148, s[40:41]                // 00000001BFB8: D1000094 00A32940
	v_cmp_lt_u32_e64 s[40:41], v241, v65                       // 00000001BFC0: D0C90028 000283F1
	v_add_u32_e32 v241, 64, v241                               // 00000001BFC8: 69E3E2C0
	s_nop 0                                                    // 00000001BFCC: BF800000
	v_cndmask_b32_e64 v149, v64, v149, s[40:41]                // 00000001BFD0: D1000095 00A32B40
	v_cmp_lt_u32_e64 s[40:41], v242, v65                       // 00000001BFD8: D0C90028 000283F2
	v_add_u32_e32 v242, 64, v242                               // 00000001BFE0: 69E5E4C0
	s_nop 0                                                    // 00000001BFE4: BF800000
	v_cndmask_b32_e64 v150, v64, v150, s[40:41]                // 00000001BFE8: D1000096 00A32D40
	v_cmp_lt_u32_e64 s[40:41], v243, v65                       // 00000001BFF0: D0C90028 000283F3
	v_add_u32_e32 v243, 64, v243                               // 00000001BFF8: 69E7E6C0
	s_nop 0                                                    // 00000001BFFC: BF800000
	v_cndmask_b32_e64 v151, v64, v151, s[40:41]                // 00000001C000: D1000097 00A32F40
	v_cmp_lt_u32_e64 s[40:41], v240, v65                       // 00000001C008: D0C90028 000283F0
	v_add_u32_e32 v240, 64, v240                               // 00000001C010: 69E1E0C0
	s_nop 0                                                    // 00000001C014: BF800000
	v_cndmask_b32_e64 v152, v64, v152, s[40:41]                // 00000001C018: D1000098 00A33140
	v_cmp_lt_u32_e64 s[40:41], v241, v65                       // 00000001C020: D0C90028 000283F1
	v_add_u32_e32 v241, 64, v241                               // 00000001C028: 69E3E2C0
	s_nop 0                                                    // 00000001C02C: BF800000
	v_cndmask_b32_e64 v153, v64, v153, s[40:41]                // 00000001C030: D1000099 00A33340
	v_cmp_lt_u32_e64 s[40:41], v242, v65                       // 00000001C038: D0C90028 000283F2
	v_add_u32_e32 v242, 64, v242                               // 00000001C040: 69E5E4C0
	s_nop 0                                                    // 00000001C044: BF800000
	v_cndmask_b32_e64 v154, v64, v154, s[40:41]                // 00000001C048: D100009A 00A33540
	v_cmp_lt_u32_e64 s[40:41], v243, v65                       // 00000001C050: D0C90028 000283F3
	v_add_u32_e32 v243, 64, v243                               // 00000001C058: 69E7E6C0
	s_nop 0                                                    // 00000001C05C: BF800000
	v_cndmask_b32_e64 v155, v64, v155, s[40:41]                // 00000001C060: D100009B 00A33740
	v_cmp_lt_u32_e64 s[40:41], v240, v65                       // 00000001C068: D0C90028 000283F0
	v_add_u32_e32 v240, 64, v240                               // 00000001C070: 69E1E0C0
	s_nop 0                                                    // 00000001C074: BF800000
	v_cndmask_b32_e64 v156, v64, v156, s[40:41]                // 00000001C078: D100009C 00A33940
	v_cmp_lt_u32_e64 s[40:41], v241, v65                       // 00000001C080: D0C90028 000283F1
	v_add_u32_e32 v241, 64, v241                               // 00000001C088: 69E3E2C0
	s_nop 0                                                    // 00000001C08C: BF800000
	v_cndmask_b32_e64 v157, v64, v157, s[40:41]                // 00000001C090: D100009D 00A33B40
	v_cmp_lt_u32_e64 s[40:41], v242, v65                       // 00000001C098: D0C90028 000283F2
	v_add_u32_e32 v242, 64, v242                               // 00000001C0A0: 69E5E4C0
	s_nop 0                                                    // 00000001C0A4: BF800000
	v_cndmask_b32_e64 v158, v64, v158, s[40:41]                // 00000001C0A8: D100009E 00A33D40
	v_cmp_lt_u32_e64 s[40:41], v243, v65                       // 00000001C0B0: D0C90028 000283F3
	v_add_u32_e32 v243, 64, v243                               // 00000001C0B8: 69E7E6C0
	s_nop 0                                                    // 00000001C0BC: BF800000
	v_cndmask_b32_e64 v159, v64, v159, s[40:41]                // 00000001C0C0: D100009F 00A33F40
	v_mov_b32_e32 v48, v144                                    // 00000001C0C8: 7E600390
	v_max3_f32 v48, v144, v145, v48                            // 00000001C0CC: D1D30030 04C32390
	v_max3_f32 v48, v146, v147, v48                            // 00000001C0D4: D1D30030 04C32792
	v_max3_f32 v48, v148, v149, v48                            // 00000001C0DC: D1D30030 04C32B94
	v_max3_f32 v48, v150, v151, v48                            // 00000001C0E4: D1D30030 04C32F96
	v_max3_f32 v48, v152, v153, v48                            // 00000001C0EC: D1D30030 04C33398
	v_max3_f32 v48, v154, v155, v48                            // 00000001C0F4: D1D30030 04C3379A
	v_max3_f32 v48, v156, v157, v48                            // 00000001C0FC: D1D30030 04C33B9C
	v_max3_f32 v48, v158, v159, v48                            // 00000001C104: D1D30030 04C33F9E
	ds_write_b32 v8, v48 offset:16896                          // 00000001C10C: D81A4200 00003008
	v_mul_f32_e32 v224, v51, v224                              // 00000001C114: 0BC1C133
	v_mul_f32_e32 v225, v51, v225                              // 00000001C118: 0BC3C333
	v_mul_f32_e32 v226, v51, v226                              // 00000001C11C: 0BC5C533
	v_mul_f32_e32 v227, v51, v227                              // 00000001C120: 0BC7C733
	v_mul_f32_e32 v228, v51, v228                              // 00000001C124: 0BC9C933
	v_mul_f32_e32 v229, v51, v229                              // 00000001C128: 0BCBCB33
	v_mul_f32_e32 v230, v51, v230                              // 00000001C12C: 0BCDCD33
	v_mul_f32_e32 v231, v51, v231                              // 00000001C130: 0BCFCF33
	s_waitcnt lgkmcnt(0)                                       // 00000001C134: BF8CC07F
	s_barrier                                                  // 00000001C138: BF8A0000
	ds_read_b32 v64, v7 offset:16896                           // 00000001C13C: D86C4200 40000007
	ds_read_b32 v65, v7 offset:16960                           // 00000001C144: D86C4240 41000007
	ds_read_b32 v66, v7 offset:17024                           // 00000001C14C: D86C4280 42000007
	ds_read_b32 v67, v7 offset:17088                           // 00000001C154: D86C42C0 43000007
	ds_read_b32 v68, v7 offset:17152                           // 00000001C15C: D86C4300 44000007
	ds_read_b32 v69, v7 offset:17216                           // 00000001C164: D86C4340 45000007
	ds_read_b32 v70, v7 offset:17280                           // 00000001C16C: D86C4380 46000007
	ds_read_b32 v71, v7 offset:17344                           // 00000001C174: D86C43C0 47000007
	ds_read_b32 v72, v7 offset:17408                           // 00000001C17C: D86C4400 48000007
	ds_read_b32 v73, v7 offset:17472                           // 00000001C184: D86C4440 49000007
	ds_read_b32 v74, v7 offset:17536                           // 00000001C18C: D86C4480 4A000007
	ds_read_b32 v75, v7 offset:17600                           // 00000001C194: D86C44C0 4B000007
	ds_read_b32 v76, v7 offset:17664                           // 00000001C19C: D86C4500 4C000007
	ds_read_b32 v77, v7 offset:17728                           // 00000001C1A4: D86C4540 4D000007
	ds_read_b32 v78, v7 offset:17792                           // 00000001C1AC: D86C4580 4E000007
	ds_read_b32 v79, v7 offset:17856                           // 00000001C1B4: D86C45C0 4F000007
	v_mul_f32_e32 v192, v46, v192                              // 00000001C1BC: 0B81812E
	v_mul_f32_e32 v193, v46, v193                              // 00000001C1C0: 0B83832E
	v_mul_f32_e32 v194, v46, v194                              // 00000001C1C4: 0B85852E
	v_mul_f32_e32 v195, v46, v195                              // 00000001C1C8: 0B87872E
	v_mul_f32_e32 v196, v46, v196                              // 00000001C1CC: 0B89892E
	v_mul_f32_e32 v197, v46, v197                              // 00000001C1D0: 0B8B8B2E
	v_mul_f32_e32 v198, v46, v198                              // 00000001C1D4: 0B8D8D2E
	v_mul_f32_e32 v199, v46, v199                              // 00000001C1D8: 0B8F8F2E
	s_waitcnt lgkmcnt(0)                                       // 00000001C1DC: BF8CC07F
	v_max3_f32 v48, v64, v65, v48                              // 00000001C1E0: D1D30030 04C28340
	v_max3_f32 v48, v66, v67, v48                              // 00000001C1E8: D1D30030 04C28742
	v_max3_f32 v48, v68, v69, v48                              // 00000001C1F0: D1D30030 04C28B44
	v_max3_f32 v48, v70, v71, v48                              // 00000001C1F8: D1D30030 04C28F46
	v_max3_f32 v48, v72, v73, v48                              // 00000001C200: D1D30030 04C29348
	v_max3_f32 v48, v74, v75, v48                              // 00000001C208: D1D30030 04C2974A
	v_max3_f32 v48, v76, v77, v48                              // 00000001C210: D1D30030 04C29B4C
	v_max3_f32 v48, v78, v79, v48                              // 00000001C218: D1D30030 04C29F4E
	v_mov_b32_e32 v64, 0xff800000                              // 00000001C220: 7E8002FF FF800000
	v_cmp_eq_u32_e64 s[40:41], v64, v13                        // 00000001C228: D0CA0028 00021B40
	s_nop 1                                                    // 00000001C230: BF800001
	v_max_f32_e32 v15, v48, v13                                // 00000001C234: 161E1B30
	v_mul_f32_e32 v53, s64, v15                                // 00000001C238: 0A6A1E40
	v_fma_f32 v144, v144, s64, -v53                            // 00000001C23C: D1CB0090 84D48190
	v_fma_f32 v145, v145, s64, -v53                            // 00000001C244: D1CB0091 84D48191
	v_fma_f32 v146, v146, s64, -v53                            // 00000001C24C: D1CB0092 84D48192
	v_fma_f32 v147, v147, s64, -v53                            // 00000001C254: D1CB0093 84D48193
	v_fma_f32 v148, v148, s64, -v53                            // 00000001C25C: D1CB0094 84D48194
	v_fma_f32 v149, v149, s64, -v53                            // 00000001C264: D1CB0095 84D48195
	v_fma_f32 v150, v150, s64, -v53                            // 00000001C26C: D1CB0096 84D48196
	v_fma_f32 v151, v151, s64, -v53                            // 00000001C274: D1CB0097 84D48197
	v_fma_f32 v152, v152, s64, -v53                            // 00000001C27C: D1CB0098 84D48198
	v_fma_f32 v153, v153, s64, -v53                            // 00000001C284: D1CB0099 84D48199
	v_fma_f32 v154, v154, s64, -v53                            // 00000001C28C: D1CB009A 84D4819A
	v_fma_f32 v155, v155, s64, -v53                            // 00000001C294: D1CB009B 84D4819B
	v_fma_f32 v156, v156, s64, -v53                            // 00000001C29C: D1CB009C 84D4819C
	v_fma_f32 v157, v157, s64, -v53                            // 00000001C2A4: D1CB009D 84D4819D
	v_fma_f32 v158, v158, s64, -v53                            // 00000001C2AC: D1CB009E 84D4819E
	v_fma_f32 v159, v159, s64, -v53                            // 00000001C2B4: D1CB009F 84D4819F
	v_exp_f32_e32 v144, v144                                   // 00000001C2BC: 7F204190
	v_exp_f32_e32 v145, v145                                   // 00000001C2C0: 7F224191
	v_exp_f32_e32 v146, v146                                   // 00000001C2C4: 7F244192
	v_exp_f32_e32 v147, v147                                   // 00000001C2C8: 7F264193
	v_exp_f32_e32 v148, v148                                   // 00000001C2CC: 7F284194
	v_exp_f32_e32 v149, v149                                   // 00000001C2D0: 7F2A4195
	v_exp_f32_e32 v150, v150                                   // 00000001C2D4: 7F2C4196
	v_exp_f32_e32 v151, v151                                   // 00000001C2D8: 7F2E4197
	v_exp_f32_e32 v152, v152                                   // 00000001C2DC: 7F304198
	v_exp_f32_e32 v153, v153                                   // 00000001C2E0: 7F324199
	v_exp_f32_e32 v154, v154                                   // 00000001C2E4: 7F34419A
	v_exp_f32_e32 v155, v155                                   // 00000001C2E8: 7F36419B
	v_exp_f32_e32 v156, v156                                   // 00000001C2EC: 7F38419C
	v_exp_f32_e32 v157, v157                                   // 00000001C2F0: 7F3A419D
	v_exp_f32_e32 v158, v158                                   // 00000001C2F4: 7F3C419E
	v_exp_f32_e32 v159, v159                                   // 00000001C2F8: 7F3E419F
	v_mul_f32_dpp v240, v252, v144 quad_perm:[0,0,0,0] row_mask:0xf bank_mask:0xf// 00000001C2FC: 0BE120FA FF0000FC
	v_mul_f32_dpp v241, v252, v145 quad_perm:[1,1,1,1] row_mask:0xf bank_mask:0xf// 00000001C304: 0BE322FA FF0055FC
	v_mul_f32_dpp v242, v252, v146 quad_perm:[2,2,2,2] row_mask:0xf bank_mask:0xf// 00000001C30C: 0BE524FA FF00AAFC
	v_mul_f32_dpp v243, v252, v147 quad_perm:[3,3,3,3] row_mask:0xf bank_mask:0xf// 00000001C314: 0BE726FA FF00FFFC
	v_mul_f32_dpp v244, v253, v148 quad_perm:[0,0,0,0] row_mask:0xf bank_mask:0xf// 00000001C31C: 0BE928FA FF0000FD
	v_mul_f32_dpp v245, v253, v149 quad_perm:[1,1,1,1] row_mask:0xf bank_mask:0xf// 00000001C324: 0BEB2AFA FF0055FD
	v_mul_f32_dpp v246, v253, v150 quad_perm:[2,2,2,2] row_mask:0xf bank_mask:0xf// 00000001C32C: 0BED2CFA FF00AAFD
	v_mul_f32_dpp v247, v253, v151 quad_perm:[3,3,3,3] row_mask:0xf bank_mask:0xf// 00000001C334: 0BEF2EFA FF00FFFD
	v_mul_f32_dpp v248, v254, v152 quad_perm:[0,0,0,0] row_mask:0xf bank_mask:0xf// 00000001C33C: 0BF130FA FF0000FE
	v_mul_f32_dpp v249, v254, v153 quad_perm:[1,1,1,1] row_mask:0xf bank_mask:0xf// 00000001C344: 0BF332FA FF0055FE
	v_mul_f32_dpp v250, v254, v154 quad_perm:[2,2,2,2] row_mask:0xf bank_mask:0xf// 00000001C34C: 0BF534FA FF00AAFE
	v_mul_f32_dpp v251, v254, v155 quad_perm:[3,3,3,3] row_mask:0xf bank_mask:0xf// 00000001C354: 0BF736FA FF00FFFE
	v_mul_f32_dpp v252, v255, v156 quad_perm:[0,0,0,0] row_mask:0xf bank_mask:0xf// 00000001C35C: 0BF938FA FF0000FF
	v_mul_f32_dpp v253, v255, v157 quad_perm:[1,1,1,1] row_mask:0xf bank_mask:0xf// 00000001C364: 0BFB3AFA FF0055FF
	v_mul_f32_dpp v254, v255, v158 quad_perm:[2,2,2,2] row_mask:0xf bank_mask:0xf// 00000001C36C: 0BFD3CFA FF00AAFF
	v_mul_f32_dpp v255, v255, v159 quad_perm:[3,3,3,3] row_mask:0xf bank_mask:0xf// 00000001C374: 0BFF3EFA FF00FFFF
	v_mov_b32_e32 v48, 0x358637bd                              // 00000001C37C: 7E6002FF 358637BD
	v_max3_f32 v48, |v240|, |v241|, v48                        // 00000001C384: D1D30330 04C3E3F0
	v_max3_f32 v48, |v242|, |v243|, v48                        // 00000001C38C: D1D30330 04C3E7F2
	v_max3_f32 v48, |v244|, |v245|, v48                        // 00000001C394: D1D30330 04C3EBF4
	v_max3_f32 v48, |v246|, |v247|, v48                        // 00000001C39C: D1D30330 04C3EFF6
	v_max3_f32 v48, |v248|, |v249|, v48                        // 00000001C3A4: D1D30330 04C3F3F8
	v_max3_f32 v48, |v250|, |v251|, v48                        // 00000001C3AC: D1D30330 04C3F7FA
	v_max3_f32 v48, |v252|, |v253|, v48                        // 00000001C3B4: D1D30330 04C3FBFC
	v_max3_f32 v48, |v254|, |v255|, v48                        // 00000001C3BC: D1D30330 04C3FFFE
	ds_write_b32 v8, v48 offset:20992                          // 00000001C3C4: D81A5200 00003008
	v_sub_f32_e32 v51, v13, v15                                // 00000001C3CC: 04661F0D
	v_cndmask_b32_e64 v51, v51, 0, s[40:41]                    // 00000001C3D0: D1000033 00A10133
	v_mov_b32_e32 v13, v15                                     // 00000001C3D8: 7E1A030F
	v_mul_f32_e32 v51, s64, v51                                // 00000001C3DC: 0A666640
	v_exp_f32_e32 v51, v51                                     // 00000001C3E0: 7E664133
	s_waitcnt lgkmcnt(0)                                       // 00000001C3E4: BF8CC07F
	s_barrier                                                  // 00000001C3E8: BF8A0000
	ds_read_b32 v64, v7 offset:20992                           // 00000001C3EC: D86C5200 40000007
	ds_read_b32 v65, v7 offset:21056                           // 00000001C3F4: D86C5240 41000007
	ds_read_b32 v66, v7 offset:21120                           // 00000001C3FC: D86C5280 42000007
	ds_read_b32 v67, v7 offset:21184                           // 00000001C404: D86C52C0 43000007
	ds_read_b32 v68, v7 offset:21248                           // 00000001C40C: D86C5300 44000007
	ds_read_b32 v69, v7 offset:21312                           // 00000001C414: D86C5340 45000007
	ds_read_b32 v70, v7 offset:21376                           // 00000001C41C: D86C5380 46000007
	ds_read_b32 v71, v7 offset:21440                           // 00000001C424: D86C53C0 47000007
	ds_read_b32 v72, v7 offset:21504                           // 00000001C42C: D86C5400 48000007
	ds_read_b32 v73, v7 offset:21568                           // 00000001C434: D86C5440 49000007
	ds_read_b32 v74, v7 offset:21632                           // 00000001C43C: D86C5480 4A000007
	ds_read_b32 v75, v7 offset:21696                           // 00000001C444: D86C54C0 4B000007
	ds_read_b32 v76, v7 offset:21760                           // 00000001C44C: D86C5500 4C000007
	ds_read_b32 v77, v7 offset:21824                           // 00000001C454: D86C5540 4D000007
	ds_read_b32 v78, v7 offset:21888                           // 00000001C45C: D86C5580 4E000007
	ds_read_b32 v79, v7 offset:21952                           // 00000001C464: D86C55C0 4F000007
	v_mul_f32_e32 v40, v51, v40                                // 00000001C46C: 0A505133
	v_mov_b32_e32 v15, v144                                    // 00000001C470: 7E1E0390
	v_add_f32_e32 v15, v145, v15                               // 00000001C474: 021E1F91
	v_add_f32_e32 v15, v146, v15                               // 00000001C478: 021E1F92
	v_add_f32_e32 v15, v147, v15                               // 00000001C47C: 021E1F93
	v_add_f32_e32 v15, v148, v15                               // 00000001C480: 021E1F94
	v_add_f32_e32 v15, v149, v15                               // 00000001C484: 021E1F95
	v_add_f32_e32 v15, v150, v15                               // 00000001C488: 021E1F96
	v_add_f32_e32 v15, v151, v15                               // 00000001C48C: 021E1F97
	v_add_f32_e32 v15, v152, v15                               // 00000001C490: 021E1F98
	v_add_f32_e32 v15, v153, v15                               // 00000001C494: 021E1F99
	v_add_f32_e32 v15, v154, v15                               // 00000001C498: 021E1F9A
	v_add_f32_e32 v15, v155, v15                               // 00000001C49C: 021E1F9B
	v_add_f32_e32 v15, v156, v15                               // 00000001C4A0: 021E1F9C
	v_add_f32_e32 v15, v157, v15                               // 00000001C4A4: 021E1F9D
	v_add_f32_e32 v15, v158, v15                               // 00000001C4A8: 021E1F9E
	v_add_f32_e32 v15, v159, v15                               // 00000001C4AC: 021E1F9F
	v_add_f32_e32 v40, v15, v40                                // 00000001C4B0: 0250510F
	s_waitcnt lgkmcnt(0)                                       // 00000001C4B4: BF8CC07F
	v_max3_f32 v48, |v64|, |v65|, v48                          // 00000001C4B8: D1D30330 04C28340
	v_max3_f32 v48, |v66|, |v67|, v48                          // 00000001C4C0: D1D30330 04C28742
	v_max3_f32 v48, |v68|, |v69|, v48                          // 00000001C4C8: D1D30330 04C28B44
	v_max3_f32 v48, |v70|, |v71|, v48                          // 00000001C4D0: D1D30330 04C28F46
	v_max3_f32 v48, |v72|, |v73|, v48                          // 00000001C4D8: D1D30330 04C29348
	v_max3_f32 v48, |v74|, |v75|, v48                          // 00000001C4E0: D1D30330 04C2974A
	v_max3_f32 v48, |v76|, |v77|, v48                          // 00000001C4E8: D1D30330 04C29B4C
	v_max3_f32 v48, |v78|, |v79|, v48                          // 00000001C4F0: D1D30330 04C29F4E
	s_nop 2                                                    // 00000001C4F8: BF800002
	v_rcp_f32_e32 v48, v48                                     // 00000001C4FC: 7E604530
	s_nop 1                                                    // 00000001C500: BF800001
	v_mul_f32_e32 v48, 0x43700000, v48                         // 00000001C504: 0A6060FF 43700000
	v_mul_f32_e32 v144, v48, v240                              // 00000001C50C: 0B21E130
	v_mul_f32_e32 v145, v48, v241                              // 00000001C510: 0B23E330
	v_mul_f32_e32 v146, v48, v242                              // 00000001C514: 0B25E530
	v_mul_f32_e32 v147, v48, v243                              // 00000001C518: 0B27E730
	v_mul_f32_e32 v148, v48, v244                              // 00000001C51C: 0B29E930
	v_mul_f32_e32 v149, v48, v245                              // 00000001C520: 0B2BEB30
	v_mul_f32_e32 v150, v48, v246                              // 00000001C524: 0B2DED30
	v_mul_f32_e32 v151, v48, v247                              // 00000001C528: 0B2FEF30
	v_mul_f32_e32 v152, v48, v248                              // 00000001C52C: 0B31F130
	v_mul_f32_e32 v153, v48, v249                              // 00000001C530: 0B33F330
	v_mul_f32_e32 v154, v48, v250                              // 00000001C534: 0B35F530
	v_mul_f32_e32 v155, v48, v251                              // 00000001C538: 0B37F730
	v_mul_f32_e32 v156, v48, v252                              // 00000001C53C: 0B39F930
	v_mul_f32_e32 v157, v48, v253                              // 00000001C540: 0B3BFB30
	v_mul_f32_e32 v158, v48, v254                              // 00000001C544: 0B3DFD30
	v_mul_f32_e32 v159, v48, v255                              // 00000001C548: 0B3FFF30
	v_cvt_pk_fp8_f32 v144, v144, v145                          // 00000001C54C: D2A20090 00032390
	v_cvt_pk_fp8_f32 v144, v146, v147 op_sel:[0,0,1]           // 00000001C554: D2A24090 00032792
	v_cvt_pk_fp8_f32 v145, v148, v149                          // 00000001C55C: D2A20091 00032B94
	v_cvt_pk_fp8_f32 v145, v150, v151 op_sel:[0,0,1]           // 00000001C564: D2A24091 00032F96
	v_cvt_pk_fp8_f32 v146, v152, v153                          // 00000001C56C: D2A20092 00033398
	v_cvt_pk_fp8_f32 v146, v154, v155 op_sel:[0,0,1]           // 00000001C574: D2A24092 0003379A
	v_cvt_pk_fp8_f32 v147, v156, v157                          // 00000001C57C: D2A20093 00033B9C
	v_cvt_pk_fp8_f32 v147, v158, v159 op_sel:[0,0,1]           // 00000001C584: D2A24093 00033F9E
	ds_write_b32 v10, v144 offset:33280                        // 00000001C58C: D81A8200 0000900A
	ds_write_b32 v10, v145 offset:34304                        // 00000001C594: D81A8600 0000910A
	ds_write_b32 v10, v146 offset:35328                        // 00000001C59C: D81A8A00 0000920A
	ds_write_b32 v10, v147 offset:36352                        // 00000001C5A4: D81A8E00 0000930A
	v_add_f32_e32 v224, v224, v192                             // 00000001C5AC: 03C181E0
	v_add_f32_e32 v225, v225, v193                             // 00000001C5B0: 03C383E1
	v_add_f32_e32 v226, v226, v194                             // 00000001C5B4: 03C585E2
	v_add_f32_e32 v227, v227, v195                             // 00000001C5B8: 03C787E3
	v_add_f32_e32 v228, v228, v196                             // 00000001C5BC: 03C989E4
	v_add_f32_e32 v229, v229, v197                             // 00000001C5C0: 03CB8BE5
	v_add_f32_e32 v230, v230, v198                             // 00000001C5C4: 03CD8DE6
	v_add_f32_e32 v231, v231, v199                             // 00000001C5C8: 03CF8FE7
	v_rcp_f32_e32 v46, v48                                     // 00000001C5CC: 7E5C4530
	s_waitcnt lgkmcnt(0)                                       // 00000001C5D0: BF8CC07F
	s_barrier                                                  // 00000001C5D4: BF8A0000
	ds_read_b64 v[144:145], v9 offset:33280                    // 00000001C5D8: D8EC8200 90000009
	ds_read_b64 v[146:147], v9 offset:33408                    // 00000001C5E0: D8EC8280 92000009
	ds_read_b64 v[148:149], v9 offset:34304                    // 00000001C5E8: D8EC8600 94000009
	ds_read_b64 v[150:151], v9 offset:34432                    // 00000001C5F0: D8EC8680 96000009
	ds_read_b64 v[152:153], v9 offset:35328                    // 00000001C5F8: D8EC8A00 98000009
	ds_read_b64 v[154:155], v9 offset:35456                    // 00000001C600: D8EC8A80 9A000009
	ds_read_b64 v[156:157], v9 offset:36352                    // 00000001C608: D8EC8E00 9C000009
	ds_read_b64 v[158:159], v9 offset:36480                    // 00000001C610: D8EC8E80 9E000009
	s_waitcnt vmcnt(0)                                         // 00000001C618: BF8C0F70
	s_barrier                                                  // 00000001C61C: BF8A0000
	v_mfma_f32_16x16x32_fp8_fp8 v[176:179], a[96:97], v[112:113], 0// 00000001C620: D3F300B0 0A02E160
	v_mfma_f32_16x16x32_fp8_fp8 v[176:179], a[98:99], v[114:115], v[176:179]// 00000001C628: D3F300B0 0EC2E562
	v_mfma_f32_16x16x32_fp8_fp8 v[176:179], a[100:101], v[116:117], v[176:179]// 00000001C630: D3F300B0 0EC2E964
	v_mfma_f32_16x16x32_fp8_fp8 v[176:179], a[102:103], v[118:119], v[176:179]// 00000001C638: D3F300B0 0EC2ED66
	v_mfma_f32_16x16x32_fp8_fp8 v[176:179], a[104:105], v[120:121], v[176:179]// 00000001C640: D3F300B0 0EC2F168
	v_mfma_f32_16x16x32_fp8_fp8 v[176:179], a[106:107], v[122:123], v[176:179]// 00000001C648: D3F300B0 0EC2F56A
	v_mfma_f32_16x16x32_fp8_fp8 v[176:179], a[108:109], v[124:125], v[176:179]// 00000001C650: D3F300B0 0EC2F96C
	v_mfma_f32_16x16x32_fp8_fp8 v[176:179], a[110:111], v[126:127], v[176:179]// 00000001C658: D3F300B0 0EC2FD6E
	v_mfma_f32_16x16x32_fp8_fp8 v[180:183], a[112:113], v[112:113], 0// 00000001C660: D3F300B4 0A02E170
	v_mfma_f32_16x16x32_fp8_fp8 v[180:183], a[114:115], v[114:115], v[180:183]// 00000001C668: D3F300B4 0ED2E572
	v_mfma_f32_16x16x32_fp8_fp8 v[180:183], a[116:117], v[116:117], v[180:183]// 00000001C670: D3F300B4 0ED2E974
	v_mfma_f32_16x16x32_fp8_fp8 v[180:183], a[118:119], v[118:119], v[180:183]// 00000001C678: D3F300B4 0ED2ED76
	v_mfma_f32_16x16x32_fp8_fp8 v[180:183], a[120:121], v[120:121], v[180:183]// 00000001C680: D3F300B4 0ED2F178
	v_mfma_f32_16x16x32_fp8_fp8 v[180:183], a[122:123], v[122:123], v[180:183]// 00000001C688: D3F300B4 0ED2F57A
	v_mfma_f32_16x16x32_fp8_fp8 v[180:183], a[124:125], v[124:125], v[180:183]// 00000001C690: D3F300B4 0ED2F97C
	v_mfma_f32_16x16x32_fp8_fp8 v[180:183], a[126:127], v[126:127], v[180:183]// 00000001C698: D3F300B4 0ED2FD7E
	v_mfma_f32_16x16x32_fp8_fp8 v[184:187], a[96:97], v[128:129], 0// 00000001C6A0: D3F300B8 0A030160
	v_mfma_f32_16x16x32_fp8_fp8 v[184:187], a[98:99], v[130:131], v[184:187]// 00000001C6A8: D3F300B8 0EE30562
	v_mfma_f32_16x16x32_fp8_fp8 v[184:187], a[100:101], v[132:133], v[184:187]// 00000001C6B0: D3F300B8 0EE30964
	v_mfma_f32_16x16x32_fp8_fp8 v[184:187], a[102:103], v[134:135], v[184:187]// 00000001C6B8: D3F300B8 0EE30D66
	v_mfma_f32_16x16x32_fp8_fp8 v[184:187], a[104:105], v[136:137], v[184:187]// 00000001C6C0: D3F300B8 0EE31168
	v_mfma_f32_16x16x32_fp8_fp8 v[184:187], a[106:107], v[138:139], v[184:187]// 00000001C6C8: D3F300B8 0EE3156A
	v_mfma_f32_16x16x32_fp8_fp8 v[184:187], a[108:109], v[140:141], v[184:187]// 00000001C6D0: D3F300B8 0EE3196C
	v_mfma_f32_16x16x32_fp8_fp8 v[184:187], a[110:111], v[142:143], v[184:187]// 00000001C6D8: D3F300B8 0EE31D6E
	v_mfma_f32_16x16x32_fp8_fp8 v[188:191], a[112:113], v[128:129], 0// 00000001C6E0: D3F300BC 0A030170
	v_mfma_f32_16x16x32_fp8_fp8 v[188:191], a[114:115], v[130:131], v[188:191]// 00000001C6E8: D3F300BC 0EF30572
	v_mfma_f32_16x16x32_fp8_fp8 v[188:191], a[116:117], v[132:133], v[188:191]// 00000001C6F0: D3F300BC 0EF30974
	v_mfma_f32_16x16x32_fp8_fp8 v[188:191], a[118:119], v[134:135], v[188:191]// 00000001C6F8: D3F300BC 0EF30D76
	v_mfma_f32_16x16x32_fp8_fp8 v[188:191], a[120:121], v[136:137], v[188:191]// 00000001C700: D3F300BC 0EF31178
	v_mfma_f32_16x16x32_fp8_fp8 v[188:191], a[122:123], v[138:139], v[188:191]// 00000001C708: D3F300BC 0EF3157A
	v_mfma_f32_16x16x32_fp8_fp8 v[188:191], a[124:125], v[140:141], v[188:191]// 00000001C710: D3F300BC 0EF3197C
	v_mfma_f32_16x16x32_fp8_fp8 v[188:191], a[126:127], v[142:143], v[188:191]// 00000001C718: D3F300BC 0EF31D7E
	v_mfma_f32_16x16x32_fp8_fp8 v[192:195], a[96:97], v[144:145], 0// 00000001C720: D3F300C0 0A032160
	v_mfma_f32_16x16x32_fp8_fp8 v[192:195], a[98:99], v[146:147], v[192:195]// 00000001C728: D3F300C0 0F032562
	v_mfma_f32_16x16x32_fp8_fp8 v[192:195], a[100:101], v[148:149], v[192:195]// 00000001C730: D3F300C0 0F032964
	v_mfma_f32_16x16x32_fp8_fp8 v[192:195], a[102:103], v[150:151], v[192:195]// 00000001C738: D3F300C0 0F032D66
	v_mfma_f32_16x16x32_fp8_fp8 v[192:195], a[104:105], v[152:153], v[192:195]// 00000001C740: D3F300C0 0F033168
	v_mfma_f32_16x16x32_fp8_fp8 v[192:195], a[106:107], v[154:155], v[192:195]// 00000001C748: D3F300C0 0F03356A
	v_mfma_f32_16x16x32_fp8_fp8 v[192:195], a[108:109], v[156:157], v[192:195]// 00000001C750: D3F300C0 0F03396C
	v_mfma_f32_16x16x32_fp8_fp8 v[192:195], a[110:111], v[158:159], v[192:195]// 00000001C758: D3F300C0 0F033D6E
	v_mfma_f32_16x16x32_fp8_fp8 v[196:199], a[112:113], v[144:145], 0// 00000001C760: D3F300C4 0A032170
	v_mfma_f32_16x16x32_fp8_fp8 v[196:199], a[114:115], v[146:147], v[196:199]// 00000001C768: D3F300C4 0F132572
	v_mfma_f32_16x16x32_fp8_fp8 v[196:199], a[116:117], v[148:149], v[196:199]// 00000001C770: D3F300C4 0F132974
	v_mfma_f32_16x16x32_fp8_fp8 v[196:199], a[118:119], v[150:151], v[196:199]// 00000001C778: D3F300C4 0F132D76
	v_mfma_f32_16x16x32_fp8_fp8 v[196:199], a[120:121], v[152:153], v[196:199]// 00000001C780: D3F300C4 0F133178
	v_mfma_f32_16x16x32_fp8_fp8 v[196:199], a[122:123], v[154:155], v[196:199]// 00000001C788: D3F300C4 0F13357A
	v_mfma_f32_16x16x32_fp8_fp8 v[196:199], a[124:125], v[156:157], v[196:199]// 00000001C790: D3F300C4 0F13397C
	v_mfma_f32_16x16x32_fp8_fp8 v[196:199], a[126:127], v[158:159], v[196:199]// 00000001C798: D3F300C4 0F133D7E
	s_nop 4                                                    // 00000001C7A0: BF800004
	s_branch label_696A                                        // 00000001C7A4: BF820000

000000000001c7a8 <label_696A>:
	v_mul_f32_e32 v208, v49, v208                              // 00000001C7A8: 0BA1A131
	v_mul_f32_e32 v209, v49, v209                              // 00000001C7AC: 0BA3A331
	v_mul_f32_e32 v210, v49, v210                              // 00000001C7B0: 0BA5A531
	v_mul_f32_e32 v211, v49, v211                              // 00000001C7B4: 0BA7A731
	v_mul_f32_e32 v212, v49, v212                              // 00000001C7B8: 0BA9A931
	v_mul_f32_e32 v213, v49, v213                              // 00000001C7BC: 0BABAB31
	v_mul_f32_e32 v214, v49, v214                              // 00000001C7C0: 0BADAD31
	v_mul_f32_e32 v215, v49, v215                              // 00000001C7C4: 0BAFAF31
	v_mul_f32_e32 v176, v44, v176                              // 00000001C7C8: 0B61612C
	v_mul_f32_e32 v177, v44, v177                              // 00000001C7CC: 0B63632C
	v_mul_f32_e32 v178, v44, v178                              // 00000001C7D0: 0B65652C
	v_mul_f32_e32 v179, v44, v179                              // 00000001C7D4: 0B67672C
	v_mul_f32_e32 v180, v44, v180                              // 00000001C7D8: 0B69692C
	v_mul_f32_e32 v181, v44, v181                              // 00000001C7DC: 0B6B6B2C
	v_mul_f32_e32 v182, v44, v182                              // 00000001C7E0: 0B6D6D2C
	v_mul_f32_e32 v183, v44, v183                              // 00000001C7E4: 0B6F6F2C
	v_add_f32_e32 v208, v208, v176                             // 00000001C7E8: 03A161D0
	v_add_f32_e32 v209, v209, v177                             // 00000001C7EC: 03A363D1
	v_add_f32_e32 v210, v210, v178                             // 00000001C7F0: 03A565D2
	v_add_f32_e32 v211, v211, v179                             // 00000001C7F4: 03A767D3
	v_add_f32_e32 v212, v212, v180                             // 00000001C7F8: 03A969D4
	v_add_f32_e32 v213, v213, v181                             // 00000001C7FC: 03AB6BD5
	v_add_f32_e32 v214, v214, v182                             // 00000001C800: 03AD6DD6
	v_add_f32_e32 v215, v215, v183                             // 00000001C804: 03AF6FD7
	ds_write_b32 v8, v38 offset:16896                          // 00000001C808: D81A4200 00002608
	s_waitcnt lgkmcnt(0)                                       // 00000001C810: BF8CC07F
	s_barrier                                                  // 00000001C814: BF8A0000
	ds_read_b32 v64, v7 offset:16896                           // 00000001C818: D86C4200 40000007
	ds_read_b32 v65, v7 offset:16960                           // 00000001C820: D86C4240 41000007
	ds_read_b32 v66, v7 offset:17024                           // 00000001C828: D86C4280 42000007
	ds_read_b32 v67, v7 offset:17088                           // 00000001C830: D86C42C0 43000007
	ds_read_b32 v68, v7 offset:17152                           // 00000001C838: D86C4300 44000007
	ds_read_b32 v69, v7 offset:17216                           // 00000001C840: D86C4340 45000007
	ds_read_b32 v70, v7 offset:17280                           // 00000001C848: D86C4380 46000007
	ds_read_b32 v71, v7 offset:17344                           // 00000001C850: D86C43C0 47000007
	ds_read_b32 v72, v7 offset:17408                           // 00000001C858: D86C4400 48000007
	ds_read_b32 v73, v7 offset:17472                           // 00000001C860: D86C4440 49000007
	ds_read_b32 v74, v7 offset:17536                           // 00000001C868: D86C4480 4A000007
	ds_read_b32 v75, v7 offset:17600                           // 00000001C870: D86C44C0 4B000007
	ds_read_b32 v76, v7 offset:17664                           // 00000001C878: D86C4500 4C000007
	ds_read_b32 v77, v7 offset:17728                           // 00000001C880: D86C4540 4D000007
	ds_read_b32 v78, v7 offset:17792                           // 00000001C888: D86C4580 4E000007
	ds_read_b32 v79, v7 offset:17856                           // 00000001C890: D86C45C0 4F000007
	s_waitcnt lgkmcnt(0)                                       // 00000001C898: BF8CC07F
	v_mov_b32_e32 v38, 0                                       // 00000001C89C: 7E4C0280
	v_add_f32_e32 v38, v64, v38                                // 00000001C8A0: 024C4D40
	v_add_f32_e32 v38, v65, v38                                // 00000001C8A4: 024C4D41
	v_add_f32_e32 v38, v66, v38                                // 00000001C8A8: 024C4D42
	v_add_f32_e32 v38, v67, v38                                // 00000001C8AC: 024C4D43
	v_add_f32_e32 v38, v68, v38                                // 00000001C8B0: 024C4D44
	v_add_f32_e32 v38, v69, v38                                // 00000001C8B4: 024C4D45
	v_add_f32_e32 v38, v70, v38                                // 00000001C8B8: 024C4D46
	v_add_f32_e32 v38, v71, v38                                // 00000001C8BC: 024C4D47
	v_add_f32_e32 v38, v72, v38                                // 00000001C8C0: 024C4D48
	v_add_f32_e32 v38, v73, v38                                // 00000001C8C4: 024C4D49
	v_add_f32_e32 v38, v74, v38                                // 00000001C8C8: 024C4D4A
	v_add_f32_e32 v38, v75, v38                                // 00000001C8CC: 024C4D4B
	v_add_f32_e32 v38, v76, v38                                // 00000001C8D0: 024C4D4C
	v_add_f32_e32 v38, v77, v38                                // 00000001C8D4: 024C4D4D
	v_add_f32_e32 v38, v78, v38                                // 00000001C8D8: 024C4D4E
	v_add_f32_e32 v38, v79, v38                                // 00000001C8DC: 024C4D4F
	s_nop 1                                                    // 00000001C8E0: BF800001
	v_rcp_f32_e32 v38, v38                                     // 00000001C8E4: 7E4C4526
	s_nop 1                                                    // 00000001C8E8: BF800001
	v_mul_f32_e32 v208, v38, v208                              // 00000001C8EC: 0BA1A126
	v_mul_f32_e32 v209, v38, v209                              // 00000001C8F0: 0BA3A326
	v_mul_f32_e32 v210, v38, v210                              // 00000001C8F4: 0BA5A526
	v_mul_f32_e32 v211, v38, v211                              // 00000001C8F8: 0BA7A726
	v_mul_f32_e32 v212, v38, v212                              // 00000001C8FC: 0BA9A926
	v_mul_f32_e32 v213, v38, v213                              // 00000001C900: 0BABAB26
	v_mul_f32_e32 v214, v38, v214                              // 00000001C904: 0BADAD26
	v_mul_f32_e32 v215, v38, v215                              // 00000001C908: 0BAFAF26
	v_mov_b32_e32 v19, 0xffff0000                              // 00000001C90C: 7E2602FF FFFF0000
	v_mov_b32_e32 v20, 0x7fff0000                              // 00000001C914: 7E2802FF 7FFF0000
	v_mov_b32_e32 v21, 0x7fff                                  // 00000001C91C: 7E2A02FF 00007FFF
	v_cvt_pkrtz_f16_f32 v64, v208, v209                        // 00000001C924: D2960040 0003A3D0
	v_mov_b32_e32 v208, v64                                    // 00000001C92C: 7FA00340
	v_cvt_pkrtz_f16_f32 v64, v210, v211                        // 00000001C930: D2960040 0003A7D2
	v_mov_b32_e32 v209, v64                                    // 00000001C938: 7FA20340
	v_cvt_pkrtz_f16_f32 v64, v212, v213                        // 00000001C93C: D2960040 0003ABD4
	v_mov_b32_e32 v210, v64                                    // 00000001C944: 7FA40340
	v_cvt_pkrtz_f16_f32 v64, v214, v215                        // 00000001C948: D2960040 0003AFD6
	v_mov_b32_e32 v211, v64                                    // 00000001C950: 7FA60340
	s_nop 1                                                    // 00000001C954: BF800001
	v_lshrrev_b32_e32 v64, 4, v0                               // 00000001C958: 20800084
	v_mul_i32_i24_e32 v68, 34, v64                             // 00000001C95C: 0C8880A2
	v_and_b32_e32 v64, 15, v0                                  // 00000001C960: 2680008F
	v_mul_i32_i24_e32 v65, 2, v64                              // 00000001C964: 0C828082
	v_add_u32_e32 v68, v65, v68                                // 00000001C968: 68888941
	s_mul_i32 s60, s7, 0x88                                    // 00000001C96C: 923CFF07 00000088
	v_add_u32_e32 v68, s60, v68                                // 00000001C974: 6888883C
	v_lshlrev_b32_e32 v68, 2, v68                              // 00000001C978: 24888882
	ds_write_b64 v68, v[208:209] offset:41472                  // 00000001C97C: D89AA200 0000D044
	ds_write_b64 v68, v[210:211] offset:43648                  // 00000001C984: D89AAA80 0000D244
	v_lshrrev_b32_e32 v64, 1, v0                               // 00000001C98C: 20800081
	v_mul_i32_i24_e32 v68, 34, v64                             // 00000001C990: 0C8880A2
	v_and_b32_e32 v65, 1, v0                                   // 00000001C994: 26820081
	v_add_u32_e32 v68, v65, v68                                // 00000001C998: 68888941
	s_mul_i32 s60, s7, 2                                       // 00000001C99C: 923C8207
	v_add_u32_e32 v68, s60, v68                                // 00000001C9A0: 6888883C
	v_lshlrev_b32_e32 v68, 2, v68                              // 00000001C9A4: 24888882
	s_waitcnt lgkmcnt(0)                                       // 00000001C9A8: BF8CC07F
	s_barrier                                                  // 00000001C9AC: BF8A0000
	ds_read_b32 v208, v68 offset:41472                         // 00000001C9B0: D86CA200 D0000044
	ds_read_b32 v209, v68 offset:41504                         // 00000001C9B8: D86CA220 D1000044
	ds_read_b32 v210, v68 offset:41536                         // 00000001C9C0: D86CA240 D2000044
	ds_read_b32 v211, v68 offset:41568                         // 00000001C9C8: D86CA260 D3000044
	s_mul_i32 s60, s7, 0x100                                   // 00000001C9D0: 923CFF07 00000100
	v_lshlrev_b32_e32 v64, 2, v0                               // 00000001C9D8: 24800082
	v_add_u32_e64 v64, v64, s60                                // 00000001C9DC: D1340040 00007940
	s_waitcnt lgkmcnt(0)                                       // 00000001C9E4: BF8CC07F
	buffer_store_dword v208, v64, s[8:11], 0 offen             // 00000001C9E8: E0701000 8002D040
	buffer_store_dword v209, v64, s[8:11], 0 offen offset:1024 // 00000001C9F0: E0701400 8002D140
	buffer_store_dword v210, v64, s[8:11], 0 offen offset:2048 // 00000001C9F8: E0701800 8002D240
	buffer_store_dword v211, v64, s[8:11], 0 offen offset:3072 // 00000001CA00: E0701C00 8002D340
	s_add_u32 s8, s75, s8                                      // 00000001CA08: 8008084B
	s_addc_u32 s9, 0, s9                                       // 00000001CA0C: 82090980
	v_mul_f32_e32 v216, v50, v216                              // 00000001CA10: 0BB1B132
	v_mul_f32_e32 v217, v50, v217                              // 00000001CA14: 0BB3B332
	v_mul_f32_e32 v218, v50, v218                              // 00000001CA18: 0BB5B532
	v_mul_f32_e32 v219, v50, v219                              // 00000001CA1C: 0BB7B732
	v_mul_f32_e32 v220, v50, v220                              // 00000001CA20: 0BB9B932
	v_mul_f32_e32 v221, v50, v221                              // 00000001CA24: 0BBBBB32
	v_mul_f32_e32 v222, v50, v222                              // 00000001CA28: 0BBDBD32
	v_mul_f32_e32 v223, v50, v223                              // 00000001CA2C: 0BBFBF32
	v_mul_f32_e32 v184, v45, v184                              // 00000001CA30: 0B71712D
	v_mul_f32_e32 v185, v45, v185                              // 00000001CA34: 0B73732D
	v_mul_f32_e32 v186, v45, v186                              // 00000001CA38: 0B75752D
	v_mul_f32_e32 v187, v45, v187                              // 00000001CA3C: 0B77772D
	v_mul_f32_e32 v188, v45, v188                              // 00000001CA40: 0B79792D
	v_mul_f32_e32 v189, v45, v189                              // 00000001CA44: 0B7B7B2D
	v_mul_f32_e32 v190, v45, v190                              // 00000001CA48: 0B7D7D2D
	v_mul_f32_e32 v191, v45, v191                              // 00000001CA4C: 0B7F7F2D
	v_add_f32_e32 v216, v216, v184                             // 00000001CA50: 03B171D8
	v_add_f32_e32 v217, v217, v185                             // 00000001CA54: 03B373D9
	v_add_f32_e32 v218, v218, v186                             // 00000001CA58: 03B575DA
	v_add_f32_e32 v219, v219, v187                             // 00000001CA5C: 03B777DB
	v_add_f32_e32 v220, v220, v188                             // 00000001CA60: 03B979DC
	v_add_f32_e32 v221, v221, v189                             // 00000001CA64: 03BB7BDD
	v_add_f32_e32 v222, v222, v190                             // 00000001CA68: 03BD7DDE
	v_add_f32_e32 v223, v223, v191                             // 00000001CA6C: 03BF7FDF
	ds_write_b32 v8, v39 offset:16896                          // 00000001CA70: D81A4200 00002708
	s_waitcnt lgkmcnt(0)                                       // 00000001CA78: BF8CC07F
	s_barrier                                                  // 00000001CA7C: BF8A0000
	ds_read_b32 v64, v7 offset:16896                           // 00000001CA80: D86C4200 40000007
	ds_read_b32 v65, v7 offset:16960                           // 00000001CA88: D86C4240 41000007
	ds_read_b32 v66, v7 offset:17024                           // 00000001CA90: D86C4280 42000007
	ds_read_b32 v67, v7 offset:17088                           // 00000001CA98: D86C42C0 43000007
	ds_read_b32 v68, v7 offset:17152                           // 00000001CAA0: D86C4300 44000007
	ds_read_b32 v69, v7 offset:17216                           // 00000001CAA8: D86C4340 45000007
	ds_read_b32 v70, v7 offset:17280                           // 00000001CAB0: D86C4380 46000007
	ds_read_b32 v71, v7 offset:17344                           // 00000001CAB8: D86C43C0 47000007
	ds_read_b32 v72, v7 offset:17408                           // 00000001CAC0: D86C4400 48000007
	ds_read_b32 v73, v7 offset:17472                           // 00000001CAC8: D86C4440 49000007
	ds_read_b32 v74, v7 offset:17536                           // 00000001CAD0: D86C4480 4A000007
	ds_read_b32 v75, v7 offset:17600                           // 00000001CAD8: D86C44C0 4B000007
	ds_read_b32 v76, v7 offset:17664                           // 00000001CAE0: D86C4500 4C000007
	ds_read_b32 v77, v7 offset:17728                           // 00000001CAE8: D86C4540 4D000007
	ds_read_b32 v78, v7 offset:17792                           // 00000001CAF0: D86C4580 4E000007
	ds_read_b32 v79, v7 offset:17856                           // 00000001CAF8: D86C45C0 4F000007
	s_waitcnt lgkmcnt(0)                                       // 00000001CB00: BF8CC07F
	v_mov_b32_e32 v39, 0                                       // 00000001CB04: 7E4E0280
	v_add_f32_e32 v39, v64, v39                                // 00000001CB08: 024E4F40
	v_add_f32_e32 v39, v65, v39                                // 00000001CB0C: 024E4F41
	v_add_f32_e32 v39, v66, v39                                // 00000001CB10: 024E4F42
	v_add_f32_e32 v39, v67, v39                                // 00000001CB14: 024E4F43
	v_add_f32_e32 v39, v68, v39                                // 00000001CB18: 024E4F44
	v_add_f32_e32 v39, v69, v39                                // 00000001CB1C: 024E4F45
	v_add_f32_e32 v39, v70, v39                                // 00000001CB20: 024E4F46
	v_add_f32_e32 v39, v71, v39                                // 00000001CB24: 024E4F47
	v_add_f32_e32 v39, v72, v39                                // 00000001CB28: 024E4F48
	v_add_f32_e32 v39, v73, v39                                // 00000001CB2C: 024E4F49
	v_add_f32_e32 v39, v74, v39                                // 00000001CB30: 024E4F4A
	v_add_f32_e32 v39, v75, v39                                // 00000001CB34: 024E4F4B
	v_add_f32_e32 v39, v76, v39                                // 00000001CB38: 024E4F4C
	v_add_f32_e32 v39, v77, v39                                // 00000001CB3C: 024E4F4D
	v_add_f32_e32 v39, v78, v39                                // 00000001CB40: 024E4F4E
	v_add_f32_e32 v39, v79, v39                                // 00000001CB44: 024E4F4F
	s_nop 1                                                    // 00000001CB48: BF800001
	v_rcp_f32_e32 v39, v39                                     // 00000001CB4C: 7E4E4527
	s_nop 1                                                    // 00000001CB50: BF800001
	v_mul_f32_e32 v216, v39, v216                              // 00000001CB54: 0BB1B127
	v_mul_f32_e32 v217, v39, v217                              // 00000001CB58: 0BB3B327
	v_mul_f32_e32 v218, v39, v218                              // 00000001CB5C: 0BB5B527
	v_mul_f32_e32 v219, v39, v219                              // 00000001CB60: 0BB7B727
	v_mul_f32_e32 v220, v39, v220                              // 00000001CB64: 0BB9B927
	v_mul_f32_e32 v221, v39, v221                              // 00000001CB68: 0BBBBB27
	v_mul_f32_e32 v222, v39, v222                              // 00000001CB6C: 0BBDBD27
	v_mul_f32_e32 v223, v39, v223                              // 00000001CB70: 0BBFBF27
	v_mov_b32_e32 v19, 0xffff0000                              // 00000001CB74: 7E2602FF FFFF0000
	v_mov_b32_e32 v20, 0x7fff0000                              // 00000001CB7C: 7E2802FF 7FFF0000
	v_mov_b32_e32 v21, 0x7fff                                  // 00000001CB84: 7E2A02FF 00007FFF
	v_cvt_pkrtz_f16_f32 v64, v216, v217                        // 00000001CB8C: D2960040 0003B3D8
	v_mov_b32_e32 v216, v64                                    // 00000001CB94: 7FB00340
	v_cvt_pkrtz_f16_f32 v64, v218, v219                        // 00000001CB98: D2960040 0003B7DA
	v_mov_b32_e32 v217, v64                                    // 00000001CBA0: 7FB20340
	v_cvt_pkrtz_f16_f32 v64, v220, v221                        // 00000001CBA4: D2960040 0003BBDC
	v_mov_b32_e32 v218, v64                                    // 00000001CBAC: 7FB40340
	v_cvt_pkrtz_f16_f32 v64, v222, v223                        // 00000001CBB0: D2960040 0003BFDE
	v_mov_b32_e32 v219, v64                                    // 00000001CBB8: 7FB60340
	s_nop 1                                                    // 00000001CBBC: BF800001
	v_lshrrev_b32_e32 v64, 4, v0                               // 00000001CBC0: 20800084
	v_mul_i32_i24_e32 v68, 34, v64                             // 00000001CBC4: 0C8880A2
	v_and_b32_e32 v64, 15, v0                                  // 00000001CBC8: 2680008F
	v_mul_i32_i24_e32 v65, 2, v64                              // 00000001CBCC: 0C828082
	v_add_u32_e32 v68, v65, v68                                // 00000001CBD0: 68888941
	s_mul_i32 s60, s7, 0x88                                    // 00000001CBD4: 923CFF07 00000088
	v_add_u32_e32 v68, s60, v68                                // 00000001CBDC: 6888883C
	v_lshlrev_b32_e32 v68, 2, v68                              // 00000001CBE0: 24888882
	ds_write_b64 v68, v[216:217] offset:41472                  // 00000001CBE4: D89AA200 0000D844
	ds_write_b64 v68, v[218:219] offset:43648                  // 00000001CBEC: D89AAA80 0000DA44
	v_lshrrev_b32_e32 v64, 1, v0                               // 00000001CBF4: 20800081
	v_mul_i32_i24_e32 v68, 34, v64                             // 00000001CBF8: 0C8880A2
	v_and_b32_e32 v65, 1, v0                                   // 00000001CBFC: 26820081
	v_add_u32_e32 v68, v65, v68                                // 00000001CC00: 68888941
	s_mul_i32 s60, s7, 2                                       // 00000001CC04: 923C8207
	v_add_u32_e32 v68, s60, v68                                // 00000001CC08: 6888883C
	v_lshlrev_b32_e32 v68, 2, v68                              // 00000001CC0C: 24888882
	s_waitcnt lgkmcnt(0)                                       // 00000001CC10: BF8CC07F
	s_barrier                                                  // 00000001CC14: BF8A0000
	ds_read_b32 v216, v68 offset:41472                         // 00000001CC18: D86CA200 D8000044
	ds_read_b32 v217, v68 offset:41504                         // 00000001CC20: D86CA220 D9000044
	ds_read_b32 v218, v68 offset:41536                         // 00000001CC28: D86CA240 DA000044
	ds_read_b32 v219, v68 offset:41568                         // 00000001CC30: D86CA260 DB000044
	s_mul_i32 s60, s7, 0x100                                   // 00000001CC38: 923CFF07 00000100
	v_lshlrev_b32_e32 v64, 2, v0                               // 00000001CC40: 24800082
	v_add_u32_e64 v64, v64, s60                                // 00000001CC44: D1340040 00007940
	s_waitcnt lgkmcnt(0)                                       // 00000001CC4C: BF8CC07F
	buffer_store_dword v216, v64, s[8:11], 0 offen             // 00000001CC50: E0701000 8002D840
	buffer_store_dword v217, v64, s[8:11], 0 offen offset:1024 // 00000001CC58: E0701400 8002D940
	buffer_store_dword v218, v64, s[8:11], 0 offen offset:2048 // 00000001CC60: E0701800 8002DA40
	buffer_store_dword v219, v64, s[8:11], 0 offen offset:3072 // 00000001CC68: E0701C00 8002DB40
	s_add_u32 s8, s75, s8                                      // 00000001CC70: 8008084B
	s_addc_u32 s9, 0, s9                                       // 00000001CC74: 82090980
	v_mul_f32_e32 v224, v51, v224                              // 00000001CC78: 0BC1C133
	v_mul_f32_e32 v225, v51, v225                              // 00000001CC7C: 0BC3C333
	v_mul_f32_e32 v226, v51, v226                              // 00000001CC80: 0BC5C533
	v_mul_f32_e32 v227, v51, v227                              // 00000001CC84: 0BC7C733
	v_mul_f32_e32 v228, v51, v228                              // 00000001CC88: 0BC9C933
	v_mul_f32_e32 v229, v51, v229                              // 00000001CC8C: 0BCBCB33
	v_mul_f32_e32 v230, v51, v230                              // 00000001CC90: 0BCDCD33
	v_mul_f32_e32 v231, v51, v231                              // 00000001CC94: 0BCFCF33
	v_mul_f32_e32 v192, v46, v192                              // 00000001CC98: 0B81812E
	v_mul_f32_e32 v193, v46, v193                              // 00000001CC9C: 0B83832E
	v_mul_f32_e32 v194, v46, v194                              // 00000001CCA0: 0B85852E
	v_mul_f32_e32 v195, v46, v195                              // 00000001CCA4: 0B87872E
	v_mul_f32_e32 v196, v46, v196                              // 00000001CCA8: 0B89892E
	v_mul_f32_e32 v197, v46, v197                              // 00000001CCAC: 0B8B8B2E
	v_mul_f32_e32 v198, v46, v198                              // 00000001CCB0: 0B8D8D2E
	v_mul_f32_e32 v199, v46, v199                              // 00000001CCB4: 0B8F8F2E
	v_add_f32_e32 v224, v224, v192                             // 00000001CCB8: 03C181E0
	v_add_f32_e32 v225, v225, v193                             // 00000001CCBC: 03C383E1
	v_add_f32_e32 v226, v226, v194                             // 00000001CCC0: 03C585E2
	v_add_f32_e32 v227, v227, v195                             // 00000001CCC4: 03C787E3
	v_add_f32_e32 v228, v228, v196                             // 00000001CCC8: 03C989E4
	v_add_f32_e32 v229, v229, v197                             // 00000001CCCC: 03CB8BE5
	v_add_f32_e32 v230, v230, v198                             // 00000001CCD0: 03CD8DE6
	v_add_f32_e32 v231, v231, v199                             // 00000001CCD4: 03CF8FE7
	ds_write_b32 v8, v40 offset:16896                          // 00000001CCD8: D81A4200 00002808
	s_waitcnt lgkmcnt(0)                                       // 00000001CCE0: BF8CC07F
	s_barrier                                                  // 00000001CCE4: BF8A0000
	ds_read_b32 v64, v7 offset:16896                           // 00000001CCE8: D86C4200 40000007
	ds_read_b32 v65, v7 offset:16960                           // 00000001CCF0: D86C4240 41000007
	ds_read_b32 v66, v7 offset:17024                           // 00000001CCF8: D86C4280 42000007
	ds_read_b32 v67, v7 offset:17088                           // 00000001CD00: D86C42C0 43000007
	ds_read_b32 v68, v7 offset:17152                           // 00000001CD08: D86C4300 44000007
	ds_read_b32 v69, v7 offset:17216                           // 00000001CD10: D86C4340 45000007
	ds_read_b32 v70, v7 offset:17280                           // 00000001CD18: D86C4380 46000007
	ds_read_b32 v71, v7 offset:17344                           // 00000001CD20: D86C43C0 47000007
	ds_read_b32 v72, v7 offset:17408                           // 00000001CD28: D86C4400 48000007
	ds_read_b32 v73, v7 offset:17472                           // 00000001CD30: D86C4440 49000007
	ds_read_b32 v74, v7 offset:17536                           // 00000001CD38: D86C4480 4A000007
	ds_read_b32 v75, v7 offset:17600                           // 00000001CD40: D86C44C0 4B000007
	ds_read_b32 v76, v7 offset:17664                           // 00000001CD48: D86C4500 4C000007
	ds_read_b32 v77, v7 offset:17728                           // 00000001CD50: D86C4540 4D000007
	ds_read_b32 v78, v7 offset:17792                           // 00000001CD58: D86C4580 4E000007
	ds_read_b32 v79, v7 offset:17856                           // 00000001CD60: D86C45C0 4F000007
	s_waitcnt lgkmcnt(0)                                       // 00000001CD68: BF8CC07F
	v_mov_b32_e32 v40, 0                                       // 00000001CD6C: 7E500280
	v_add_f32_e32 v40, v64, v40                                // 00000001CD70: 02505140
	v_add_f32_e32 v40, v65, v40                                // 00000001CD74: 02505141
	v_add_f32_e32 v40, v66, v40                                // 00000001CD78: 02505142
	v_add_f32_e32 v40, v67, v40                                // 00000001CD7C: 02505143
	v_add_f32_e32 v40, v68, v40                                // 00000001CD80: 02505144
	v_add_f32_e32 v40, v69, v40                                // 00000001CD84: 02505145
	v_add_f32_e32 v40, v70, v40                                // 00000001CD88: 02505146
	v_add_f32_e32 v40, v71, v40                                // 00000001CD8C: 02505147
	v_add_f32_e32 v40, v72, v40                                // 00000001CD90: 02505148
	v_add_f32_e32 v40, v73, v40                                // 00000001CD94: 02505149
	v_add_f32_e32 v40, v74, v40                                // 00000001CD98: 0250514A
	v_add_f32_e32 v40, v75, v40                                // 00000001CD9C: 0250514B
	v_add_f32_e32 v40, v76, v40                                // 00000001CDA0: 0250514C
	v_add_f32_e32 v40, v77, v40                                // 00000001CDA4: 0250514D
	v_add_f32_e32 v40, v78, v40                                // 00000001CDA8: 0250514E
	v_add_f32_e32 v40, v79, v40                                // 00000001CDAC: 0250514F
	s_nop 1                                                    // 00000001CDB0: BF800001
	v_rcp_f32_e32 v40, v40                                     // 00000001CDB4: 7E504528
	s_nop 1                                                    // 00000001CDB8: BF800001
	v_mul_f32_e32 v224, v40, v224                              // 00000001CDBC: 0BC1C128
	v_mul_f32_e32 v225, v40, v225                              // 00000001CDC0: 0BC3C328
	v_mul_f32_e32 v226, v40, v226                              // 00000001CDC4: 0BC5C528
	v_mul_f32_e32 v227, v40, v227                              // 00000001CDC8: 0BC7C728
	v_mul_f32_e32 v228, v40, v228                              // 00000001CDCC: 0BC9C928
	v_mul_f32_e32 v229, v40, v229                              // 00000001CDD0: 0BCBCB28
	v_mul_f32_e32 v230, v40, v230                              // 00000001CDD4: 0BCDCD28
	v_mul_f32_e32 v231, v40, v231                              // 00000001CDD8: 0BCFCF28
	v_mov_b32_e32 v19, 0xffff0000                              // 00000001CDDC: 7E2602FF FFFF0000
	v_mov_b32_e32 v20, 0x7fff0000                              // 00000001CDE4: 7E2802FF 7FFF0000
	v_mov_b32_e32 v21, 0x7fff                                  // 00000001CDEC: 7E2A02FF 00007FFF
	v_cvt_pkrtz_f16_f32 v64, v224, v225                        // 00000001CDF4: D2960040 0003C3E0
	v_mov_b32_e32 v224, v64                                    // 00000001CDFC: 7FC00340
	v_cvt_pkrtz_f16_f32 v64, v226, v227                        // 00000001CE00: D2960040 0003C7E2
	v_mov_b32_e32 v225, v64                                    // 00000001CE08: 7FC20340
	v_cvt_pkrtz_f16_f32 v64, v228, v229                        // 00000001CE0C: D2960040 0003CBE4
	v_mov_b32_e32 v226, v64                                    // 00000001CE14: 7FC40340
	v_cvt_pkrtz_f16_f32 v64, v230, v231                        // 00000001CE18: D2960040 0003CFE6
	v_mov_b32_e32 v227, v64                                    // 00000001CE20: 7FC60340
	s_nop 1                                                    // 00000001CE24: BF800001
	v_lshrrev_b32_e32 v64, 4, v0                               // 00000001CE28: 20800084
	v_mul_i32_i24_e32 v68, 34, v64                             // 00000001CE2C: 0C8880A2
	v_and_b32_e32 v64, 15, v0                                  // 00000001CE30: 2680008F
	v_mul_i32_i24_e32 v65, 2, v64                              // 00000001CE34: 0C828082
	v_add_u32_e32 v68, v65, v68                                // 00000001CE38: 68888941
	s_mul_i32 s60, s7, 0x88                                    // 00000001CE3C: 923CFF07 00000088
	v_add_u32_e32 v68, s60, v68                                // 00000001CE44: 6888883C
	v_lshlrev_b32_e32 v68, 2, v68                              // 00000001CE48: 24888882
	ds_write_b64 v68, v[224:225] offset:41472                  // 00000001CE4C: D89AA200 0000E044
	ds_write_b64 v68, v[226:227] offset:43648                  // 00000001CE54: D89AAA80 0000E244
	v_lshrrev_b32_e32 v64, 1, v0                               // 00000001CE5C: 20800081
	v_mul_i32_i24_e32 v68, 34, v64                             // 00000001CE60: 0C8880A2
	v_and_b32_e32 v65, 1, v0                                   // 00000001CE64: 26820081
	v_add_u32_e32 v68, v65, v68                                // 00000001CE68: 68888941
	s_mul_i32 s60, s7, 2                                       // 00000001CE6C: 923C8207
	v_add_u32_e32 v68, s60, v68                                // 00000001CE70: 6888883C
	v_lshlrev_b32_e32 v68, 2, v68                              // 00000001CE74: 24888882
	s_waitcnt lgkmcnt(0)                                       // 00000001CE78: BF8CC07F
	s_barrier                                                  // 00000001CE7C: BF8A0000
	ds_read_b32 v224, v68 offset:41472                         // 00000001CE80: D86CA200 E0000044
	ds_read_b32 v225, v68 offset:41504                         // 00000001CE88: D86CA220 E1000044
	ds_read_b32 v226, v68 offset:41536                         // 00000001CE90: D86CA240 E2000044
	ds_read_b32 v227, v68 offset:41568                         // 00000001CE98: D86CA260 E3000044
	s_mul_i32 s60, s7, 0x100                                   // 00000001CEA0: 923CFF07 00000100
	v_lshlrev_b32_e32 v64, 2, v0                               // 00000001CEA8: 24800082
	v_add_u32_e64 v64, v64, s60                                // 00000001CEAC: D1340040 00007940
	s_waitcnt lgkmcnt(0)                                       // 00000001CEB4: BF8CC07F
	buffer_store_dword v224, v64, s[8:11], 0 offen             // 00000001CEB8: E0701000 8002E040
	buffer_store_dword v225, v64, s[8:11], 0 offen offset:1024 // 00000001CEC0: E0701400 8002E140
	buffer_store_dword v226, v64, s[8:11], 0 offen offset:2048 // 00000001CEC8: E0701800 8002E240
	buffer_store_dword v227, v64, s[8:11], 0 offen offset:3072 // 00000001CED0: E0701C00 8002E340
	s_add_u32 s8, s75, s8                                      // 00000001CED8: 8008084B
	s_addc_u32 s9, 0, s9                                       // 00000001CEDC: 82090980

000000000001cee0 <label_6B38>:
	s_branch label_AFEB                                        // 00000001CEE0: BF8244B2

000000000001cee4 <label_6B39>:
	s_mul_i32 s60, s3, s65                                     // 00000001CEE4: 923C4103
	s_mul_i32 s60, s60, 4                                      // 00000001CEE8: 923C843C
	s_add_u32 s24, s60, s24                                    // 00000001CEEC: 8018183C
	s_addc_u32 s25, 0, s25                                     // 00000001CEF0: 82191980
	s_mov_b32 s56, 64                                          // 00000001CEF4: BEB800C0
	s_add_u32 s73, s72, 15                                     // 00000001CEF8: 80498F48
	s_lshr_b32 s73, s73, 4                                     // 00000001CEFC: 8F498449
	s_mul_i32 s60, s73, 4                                      // 00000001CF00: 923C8449
	s_mov_b32 s26, s60                                         // 00000001CF04: BE9A003C
	s_sub_u32 s89, s72, s86                                    // 00000001CF08: 80D95648
	s_mov_b32 s90, 0xff                                        // 00000001CF0C: BEDA00FF 000000FF
	s_mov_b32 s91, 0x100                                       // 00000001CF14: BEDB00FF 00000100
	v_and_b32_e32 v65, 3, v0                                   // 00000001CF1C: 26820083
	v_cmp_eq_u32_e64 s[60:61], 0, v65                          // 00000001CF20: D0CA003C 00028280
	v_and_b32_e32 v64, 12, v0                                  // 00000001CF28: 2680008C
	v_add_u32_e32 v1, s7, v64                                  // 00000001CF2C: 68028007
	v_cndmask_b32_e64 v1, 0, v1, s[60:61]                      // 00000001CF30: D1000001 00F20280
	v_and_b32_e32 v65, 3, v0                                   // 00000001CF38: 26820083
	v_cmp_eq_u32_e64 s[60:61], 1, v65                          // 00000001CF3C: D0CA003C 00028281
	v_lshrrev_b32_e32 v64, 4, v0                               // 00000001CF44: 20800084
	v_and_b32_e32 v65, 12, v0                                  // 00000001CF48: 2682008C
	v_add_u32_e32 v64, v65, v64                                // 00000001CF4C: 68808141
	v_cndmask_b32_e64 v64, 0, v64, s[60:61]                    // 00000001CF50: D1000040 00F28080
	v_add_u32_e32 v1, v1, v64                                  // 00000001CF58: 68028101
	v_lshlrev_b32_e32 v1, 2, v1                                // 00000001CF5C: 24020282
	buffer_load_dword v16, v1, s[24:27], 0 offen               // 00000001CF60: E0501000 80061001
	v_add_u32_e32 v1, s56, v1                                  // 00000001CF68: 68020238
	buffer_load_dword v17, v1, s[24:27], 0 offen               // 00000001CF6C: E0501000 80061101
	s_cmp_le_u32 s73, 32                                       // 00000001CF74: BF0BA049
	s_cselect_b32 s56, 0, s56                                  // 00000001CF78: 85383880
	s_mul_i32 s60, s2, s67                                     // 00000001CF7C: 923C4302
	s_mul_i32 s61, s84, s74                                    // 00000001CF80: 923D4A54
	s_add_u32 s60, s60, s61                                    // 00000001CF84: 803C3D3C
	s_add_u32 s12, s60, s12                                    // 00000001CF88: 800C0C3C
	s_addc_u32 s13, 0, s13                                     // 00000001CF8C: 820D0D80
	s_mul_i32 s60, s7, 0x108                                   // 00000001CF90: 923CFF07 00000108
	s_add_u32 m0, 0, s60                                       // 00000001CF98: 807C3C80
	s_mul_i32 s60, s7, 0x100                                   // 00000001CF9C: 923CFF07 00000100
	v_lshlrev_b32_e32 v64, 2, v0                               // 00000001CFA4: 24800082
	v_add_u32_e64 v64, v64, s60                                // 00000001CFA8: D1340040 00007940
	v_add_u32_e32 v65, 0x400, v64                              // 00000001CFB0: 688280FF 00000400
	v_add_u32_e32 v66, 0x800, v64                              // 00000001CFB8: 688480FF 00000800
	v_add_u32_e32 v67, 0xc00, v64                              // 00000001CFC0: 688680FF 00000C00
	buffer_load_dword v64, s[12:15], 0 offen lds               // 00000001CFC8: E0511000 80030040
	s_mul_i32 s60, 4, 0x108                                    // 00000001CFD0: 923CFF84 00000108
	s_add_u32 m0, m0, s60                                      // 00000001CFD8: 807C3C7C
	buffer_load_dword v65, s[12:15], 0 offen lds               // 00000001CFDC: E0511000 80030041
	s_mul_i32 s60, 4, 0x108                                    // 00000001CFE4: 923CFF84 00000108
	s_add_u32 m0, m0, s60                                      // 00000001CFEC: 807C3C7C
	buffer_load_dword v66, s[12:15], 0 offen lds               // 00000001CFF0: E0511000 80030042
	s_mul_i32 s60, 4, 0x108                                    // 00000001CFF8: 923CFF84 00000108
	s_add_u32 m0, m0, s60                                      // 00000001D000: 807C3C7C
	buffer_load_dword v67, s[12:15], 0 offen lds               // 00000001D004: E0511000 80030043
	s_mul_i32 s60, 4, 0x108                                    // 00000001D00C: 923CFF84 00000108
	s_add_u32 m0, m0, s60                                      // 00000001D014: 807C3C7C
	s_add_u32 s12, s74, s12                                    // 00000001D018: 800C0C4A
	s_addc_u32 s13, 0, s13                                     // 00000001D01C: 820D0D80
	buffer_load_dword v64, s[12:15], 0 offen lds               // 00000001D020: E0511000 80030040
	s_mul_i32 s60, 4, 0x108                                    // 00000001D028: 923CFF84 00000108
	s_add_u32 m0, m0, s60                                      // 00000001D030: 807C3C7C
	buffer_load_dword v65, s[12:15], 0 offen lds               // 00000001D034: E0511000 80030041
	s_mul_i32 s60, 4, 0x108                                    // 00000001D03C: 923CFF84 00000108
	s_add_u32 m0, m0, s60                                      // 00000001D044: 807C3C7C
	buffer_load_dword v66, s[12:15], 0 offen lds               // 00000001D048: E0511000 80030042
	s_mul_i32 s60, 4, 0x108                                    // 00000001D050: 923CFF84 00000108
	s_add_u32 m0, m0, s60                                      // 00000001D058: 807C3C7C
	buffer_load_dword v67, s[12:15], 0 offen lds               // 00000001D05C: E0511000 80030043
	s_mul_i32 s60, 4, 0x108                                    // 00000001D064: 923CFF84 00000108
	s_add_u32 m0, m0, s60                                      // 00000001D06C: 807C3C7C
	s_add_u32 s12, s74, s12                                    // 00000001D070: 800C0C4A
	s_addc_u32 s13, 0, s13                                     // 00000001D074: 820D0D80
	buffer_load_dword v64, s[12:15], 0 offen lds               // 00000001D078: E0511000 80030040
	s_mul_i32 s60, 4, 0x108                                    // 00000001D080: 923CFF84 00000108
	s_add_u32 m0, m0, s60                                      // 00000001D088: 807C3C7C
	buffer_load_dword v65, s[12:15], 0 offen lds               // 00000001D08C: E0511000 80030041
	s_mul_i32 s60, 4, 0x108                                    // 00000001D094: 923CFF84 00000108
	s_add_u32 m0, m0, s60                                      // 00000001D09C: 807C3C7C
	buffer_load_dword v66, s[12:15], 0 offen lds               // 00000001D0A0: E0511000 80030042
	s_mul_i32 s60, 4, 0x108                                    // 00000001D0A8: 923CFF84 00000108
	s_add_u32 m0, m0, s60                                      // 00000001D0B0: 807C3C7C
	buffer_load_dword v67, s[12:15], 0 offen lds               // 00000001D0B4: E0511000 80030043
	s_mul_i32 s60, 4, 0x108                                    // 00000001D0BC: 923CFF84 00000108
	s_add_u32 m0, m0, s60                                      // 00000001D0C4: 807C3C7C
	s_add_u32 s12, s74, s12                                    // 00000001D0C8: 800C0C4A
	s_addc_u32 s13, 0, s13                                     // 00000001D0CC: 820D0D80
	buffer_load_dword v64, s[12:15], 0 offen lds               // 00000001D0D0: E0511000 80030040
	s_mul_i32 s60, 4, 0x108                                    // 00000001D0D8: 923CFF84 00000108
	s_add_u32 m0, m0, s60                                      // 00000001D0E0: 807C3C7C
	buffer_load_dword v65, s[12:15], 0 offen lds               // 00000001D0E4: E0511000 80030041
	s_mul_i32 s60, 4, 0x108                                    // 00000001D0EC: 923CFF84 00000108
	s_add_u32 m0, m0, s60                                      // 00000001D0F4: 807C3C7C
	buffer_load_dword v66, s[12:15], 0 offen lds               // 00000001D0F8: E0511000 80030042
	s_mul_i32 s60, 4, 0x108                                    // 00000001D100: 923CFF84 00000108
	s_add_u32 m0, m0, s60                                      // 00000001D108: 807C3C7C
	buffer_load_dword v67, s[12:15], 0 offen lds               // 00000001D10C: E0511000 80030043
	s_mul_i32 s60, 4, 0x108                                    // 00000001D114: 923CFF84 00000108
	s_add_u32 m0, m0, s60                                      // 00000001D11C: 807C3C7C
	s_add_u32 s12, s74, s12                                    // 00000001D120: 800C0C4A
	s_addc_u32 s13, 0, s13                                     // 00000001D124: 820D0D80
	v_lshrrev_b32_e32 v64, 4, v0                               // 00000001D128: 20800084
	v_lshlrev_b32_e32 v64, 2, v64                              // 00000001D12C: 24808082
	v_and_b32_e32 v65, 3, v0                                   // 00000001D130: 26820083
	v_add_u32_e32 v64, v65, v64                                // 00000001D134: 68808141
	v_lshlrev_b32_e32 v59, 2, v64                              // 00000001D138: 24768082
	v_mov_b32_e32 v60, v59                                     // 00000001D13C: 7E78033B
	s_mul_i32 s60, s2, 64                                      // 00000001D140: 923CC002
	s_add_u32 s32, s60, s32                                    // 00000001D144: 8020203C
	s_addc_u32 s33, 0, s33                                     // 00000001D148: 82212180
	s_add_u32 s36, s60, s36                                    // 00000001D14C: 8024243C
	s_addc_u32 s37, 0, s37                                     // 00000001D150: 82252580
	s_mul_i32 s60, s2, s76                                     // 00000001D154: 923C4C02
	s_mul_i32 s61, s84, s75                                    // 00000001D158: 923D4B54
	s_add_u32 s60, s60, s61                                    // 00000001D15C: 803C3D3C
	s_add_u32 s8, s60, s8                                      // 00000001D160: 8008083C
	s_addc_u32 s9, 0, s9                                       // 00000001D164: 82090980
	s_mov_b32 s70, 0                                           // 00000001D168: BEC60080
	s_and_b32 s71, s72, 0xffffff00                             // 00000001D16C: 8647FF48 FFFFFF00
	s_mov_b32 s42, 0xff00ff00                                  // 00000001D174: BEAA00FF FF00FF00
	s_mov_b32 s43, 0xff00ff00                                  // 00000001D17C: BEAB00FF FF00FF00
	s_mov_b32 s44, 0xf0f0f0f0                                  // 00000001D184: BEAC00FF F0F0F0F0
	s_mov_b32 s45, 0xf0f0f0f0                                  // 00000001D18C: BEAD00FF F0F0F0F0
	s_mov_b32 s78, 0xff00ff                                    // 00000001D194: BECE00FF 00FF00FF
	s_mov_b32 s79, 0xff00ff                                    // 00000001D19C: BECF00FF 00FF00FF
	v_mul_i32_i24_e64 v63, 64, s66                             // 00000001D1A4: D106003F 000084C0
	v_mov_b32_e32 v54, s68                                     // 00000001D1AC: 7E6C0244
	s_mov_b32 s52, 0x7060302                                   // 00000001D1B0: BEB400FF 07060302
	s_mov_b32 s53, 0x400                                       // 00000001D1B8: BEB500FF 00000400
	s_mov_b32 s54, 0x40100                                     // 00000001D1C0: BEB600FF 00040100
	s_mov_b32 s55, 0x4020100                                   // 00000001D1C8: BEB700FF 04020100
	s_mov_b32 s6, 0x3fb8aa3b                                   // 00000001D1D0: BE8600FF 3FB8AA3B
	v_mov_b32_e32 v11, 0xff800000                              // 00000001D1D8: 7E1602FF FF800000
	v_mov_b32_e32 v12, 0xff800000                              // 00000001D1E0: 7E1802FF FF800000
	v_mov_b32_e32 v49, 0                                       // 00000001D1E8: 7E620280
	v_mov_b32_e32 v50, 0                                       // 00000001D1EC: 7E640280
	v_mov_b32_e32 v51, 0                                       // 00000001D1F0: 7E660280
	v_mov_b32_e32 v52, 0                                       // 00000001D1F4: 7E680280
	v_mov_b32_e32 v38, 0                                       // 00000001D1F8: 7E4C0280
	v_mov_b32_e32 v39, 0                                       // 00000001D1FC: 7E4E0280
	v_mov_b32_e32 v40, 0                                       // 00000001D200: 7E500280
	v_mov_b32_e32 v41, 0                                       // 00000001D204: 7E520280
	v_mov_b32_e32 v44, 0                                       // 00000001D208: 7E580280
	v_mov_b32_e32 v45, 0                                       // 00000001D20C: 7E5A0280
	v_mov_b32_e32 v46, 0                                       // 00000001D210: 7E5C0280
	v_mov_b32_e32 v47, 0                                       // 00000001D214: 7E5E0280
	v_add_u32_e32 v1, s56, v1                                  // 00000001D218: 68020238
	v_and_b32_e32 v7, 15, v0                                   // 00000001D21C: 260E008F
	v_lshlrev_b32_e32 v7, 2, v7                                // 00000001D220: 240E0E82
	v_lshlrev_b32_e32 v8, 2, v0                                // 00000001D224: 24100082
	s_mul_i32 s60, 0x100, s7                                   // 00000001D228: 923C07FF 00000100
	v_add_u32_e32 v8, s60, v8                                  // 00000001D230: 6810103C
	v_lshrrev_b32_e32 v64, 4, v0                               // 00000001D234: 20800084
	v_lshlrev_b32_e32 v65, 6, v64                              // 00000001D238: 24828086
	v_and_b32_e32 v64, 15, v0                                  // 00000001D23C: 2680008F
	v_lshlrev_b32_e32 v64, 1, v64                              // 00000001D240: 24808081
	v_add_u32_e32 v65, v64, v65                                // 00000001D244: 68828340
	v_lshlrev_b32_e32 v9, 2, v65                               // 00000001D248: 24128282
	v_lshrrev_b32_e32 v64, 5, v0                               // 00000001D24C: 20800085
	v_lshlrev_b32_e32 v65, 5, v64                              // 00000001D250: 24828085
	v_and_b32_e32 v64, 31, v0                                  // 00000001D254: 2680009F
	v_lshrrev_b32_e32 v66, 4, v64                              // 00000001D258: 20848084
	v_add_u32_e32 v65, v66, v65                                // 00000001D25C: 68828342
	v_and_b32_e32 v64, 15, v0                                  // 00000001D260: 2680008F
	v_lshlrev_b32_e32 v64, 1, v64                              // 00000001D264: 24808081
	v_add_u32_e32 v65, v64, v65                                // 00000001D268: 68828340
	v_lshlrev_b32_e32 v64, 2, v65                              // 00000001D26C: 24808282
	s_mul_i32 s60, 0x100, s7                                   // 00000001D270: 923C07FF 00000100
	v_add_u32_e64 v10, v64, s60                                // 00000001D278: D134000A 00007940
	v_lshlrev_b32_e32 v5, 4, v0                                // 00000001D280: 240A0084
	s_mul_i32 s60, s2, s69                                     // 00000001D284: 923C4502
	s_add_u32 s16, s60, s16                                    // 00000001D288: 8010103C
	s_addc_u32 s17, 0, s17                                     // 00000001D28C: 82111180
	v_and_b32_e32 v64, 15, v0                                  // 00000001D290: 2680008F
	v_lshlrev_b32_e32 v6, 4, v64                               // 00000001D294: 240C8084
	s_mul_i32 s61, s2, s69                                     // 00000001D298: 923D4502
	s_mul_i32 s60, s7, 0x100                                   // 00000001D29C: 923CFF07 00000100
	s_add_u32 s60, s60, s61                                    // 00000001D2A4: 803C3D3C
	s_add_u32 s20, s60, s20                                    // 00000001D2A8: 8014143C
	s_addc_u32 s21, 0, s21                                     // 00000001D2AC: 82151580
	s_waitcnt vmcnt(4)                                         // 00000001D2B0: BF8C0F74
	v_mul_u32_u24_dpp v64, v16, v54 row_newbcast:0 row_mask:0xf bank_mask:0xf// 00000001D2B4: 10806CFA FF015010
	v_mul_u32_u24_dpp v65, v16, v54 row_newbcast:4 row_mask:0xf bank_mask:0xf// 00000001D2BC: 10826CFA FF015410
	v_mul_u32_u24_dpp v66, v16, v54 row_newbcast:8 row_mask:0xf bank_mask:0xf// 00000001D2C4: 10846CFA FF015810
	v_mul_u32_u24_dpp v67, v16, v54 row_newbcast:12 row_mask:0xf bank_mask:0xf// 00000001D2CC: 10866CFA FF015C10
	v_add_u32_e32 v22, v64, v5                                 // 00000001D2D4: 682C0B40
	v_add_u32_e32 v23, v65, v5                                 // 00000001D2D8: 682E0B41
	v_add_u32_e32 v24, v66, v5                                 // 00000001D2DC: 68300B42
	v_add_u32_e32 v25, v67, v5                                 // 00000001D2E0: 68320B43
	v_mul_u32_u24_dpp v64, v16, v54 row_newbcast:1 row_mask:0xf bank_mask:0xf// 00000001D2E4: 10806CFA FF015110
	v_mul_u32_u24_dpp v65, v16, v54 row_newbcast:5 row_mask:0xf bank_mask:0xf// 00000001D2EC: 10826CFA FF015510
	v_mul_u32_u24_dpp v66, v16, v54 row_newbcast:9 row_mask:0xf bank_mask:0xf// 00000001D2F4: 10846CFA FF015910
	v_mul_u32_u24_dpp v67, v16, v54 row_newbcast:13 row_mask:0xf bank_mask:0xf// 00000001D2FC: 10866CFA FF015D10
	v_add_u32_e32 v30, v64, v6                                 // 00000001D304: 683C0D40
	v_add_u32_e32 v31, v65, v6                                 // 00000001D308: 683E0D41
	v_add_u32_e32 v32, v66, v6                                 // 00000001D30C: 68400D42
	v_add_u32_e32 v33, v67, v6                                 // 00000001D310: 68420D43
	v_mul_u32_u24_dpp v64, v16, v63 quad_perm:[0,0,0,0] row_mask:0xf bank_mask:0xf// 00000001D314: 10807EFA FF000010
	v_add_u32_e32 v2, v64, v59                                 // 00000001D31C: 68047740
	v_mul_u32_u24_dpp v64, v16, v63 quad_perm:[0,0,0,0] row_mask:0xf bank_mask:0xf// 00000001D320: 10807EFA FF000010
	v_add_u32_e32 v55, v64, v60                                // 00000001D328: 686E7940
	buffer_load_dword v42, v2, s[32:35], 0 offen               // 00000001D32C: E0501000 80082A02
	buffer_load_dwordx4 a[0:3], v22, s[16:19], 0 offen         // 00000001D334: E05C1000 80840016
	buffer_load_dwordx4 a[4:7], v22, s[16:19], 0 offen offset:1024// 00000001D33C: E05C1400 80840416
	buffer_load_dwordx4 a[8:11], v23, s[16:19], 0 offen        // 00000001D344: E05C1000 80840817
	buffer_load_dwordx4 a[12:15], v23, s[16:19], 0 offen offset:1024// 00000001D34C: E05C1400 80840C17
	buffer_load_dwordx4 a[16:19], v24, s[16:19], 0 offen       // 00000001D354: E05C1000 80841018
	buffer_load_dwordx4 a[20:23], v24, s[16:19], 0 offen offset:1024// 00000001D35C: E05C1400 80841418
	buffer_load_dwordx4 a[24:27], v25, s[16:19], 0 offen       // 00000001D364: E05C1000 80841819
	buffer_load_dwordx4 a[28:31], v25, s[16:19], 0 offen offset:1024// 00000001D36C: E05C1400 80841C19
	buffer_load_dword v57, v55, s[36:39], 0 offen              // 00000001D374: E0501000 80093937
	buffer_load_dwordx4 a[64:67], v30, s[20:23], 0 offen       // 00000001D37C: E05C1000 8085401E
	buffer_load_dwordx4 a[68:71], v31, s[20:23], 0 offen       // 00000001D384: E05C1000 8085441F
	buffer_load_dwordx4 a[72:75], v32, s[20:23], 0 offen       // 00000001D38C: E05C1000 80854820
	buffer_load_dwordx4 a[76:79], v33, s[20:23], 0 offen       // 00000001D394: E05C1000 80854C21
	buffer_load_dwordx4 a[80:83], v30, s[20:23], 0 offen offset:1024// 00000001D39C: E05C1400 8085501E
	buffer_load_dwordx4 a[84:87], v31, s[20:23], 0 offen offset:1024// 00000001D3A4: E05C1400 8085541F
	buffer_load_dwordx4 a[88:91], v32, s[20:23], 0 offen offset:1024// 00000001D3AC: E05C1400 80855820
	buffer_load_dwordx4 a[92:95], v33, s[20:23], 0 offen offset:1024// 00000001D3B4: E05C1400 80855C21
	v_lshrrev_b32_e32 v64, 4, v0                               // 00000001D3BC: 20800084
	v_lshlrev_b32_e32 v65, 1, v64                              // 00000001D3C0: 24828081
	v_and_b32_e32 v64, 15, v0                                  // 00000001D3C4: 2680008F
	v_mul_i32_i24_e32 v64, 0x42, v64                           // 00000001D3C8: 0C8080FF 00000042
	v_add_u32_e32 v65, v64, v65                                // 00000001D3D0: 68828340
	v_lshlrev_b32_e32 v4, 2, v65                               // 00000001D3D4: 24088282
	s_mul_i32 s60, s7, 32                                      // 00000001D3D8: 923CA007
	v_add_u32_e32 v4, s60, v4                                  // 00000001D3DC: 6808083C
	s_waitcnt vmcnt(16) lgkmcnt(0)                             // 00000001D3E0: BF8C4070
	s_barrier                                                  // 00000001D3E4: BF8A0000
	ds_read_b64 v[80:81], v4                                   // 00000001D3E8: D8EC0000 50000004
	ds_read_b64 v[84:85], v4 offset:128                        // 00000001D3F0: D8EC0080 54000004
	s_waitcnt lgkmcnt(0)                                       // 00000001D3F8: BF8CC07F
	v_and_b32_e32 v64, 0xffff, v80                             // 00000001D3FC: 2680A0FF 0000FFFF
	v_lshrrev_b32_e32 v65, 16, v80                             // 00000001D404: 2082A090
	v_and_b32_e32 v66, 0xffff, v81                             // 00000001D408: 2684A2FF 0000FFFF
	v_lshrrev_b32_e32 v67, 16, v81                             // 00000001D410: 2086A290
	v_cvt_f32_f16_e32 v80, v64                                 // 00000001D414: 7EA01740
	v_cvt_f32_f16_e32 v81, v65                                 // 00000001D418: 7EA21741
	v_cvt_f32_f16_e32 v82, v66                                 // 00000001D41C: 7EA41742
	v_cvt_f32_f16_e32 v83, v67                                 // 00000001D420: 7EA61743
	v_and_b32_e32 v64, 0xffff, v84                             // 00000001D424: 2680A8FF 0000FFFF
	v_lshrrev_b32_e32 v65, 16, v84                             // 00000001D42C: 2082A890
	v_and_b32_e32 v66, 0xffff, v85                             // 00000001D430: 2684AAFF 0000FFFF
	v_lshrrev_b32_e32 v67, 16, v85                             // 00000001D438: 2086AA90
	v_cvt_f32_f16_e32 v84, v64                                 // 00000001D43C: 7EA81740
	v_cvt_f32_f16_e32 v85, v65                                 // 00000001D440: 7EAA1741
	v_cvt_f32_f16_e32 v86, v66                                 // 00000001D444: 7EAC1742
	v_cvt_f32_f16_e32 v87, v67                                 // 00000001D448: 7EAE1743
	v_mov_b32_e32 v48, 0x358637bd                              // 00000001D44C: 7E6002FF 358637BD
	v_max3_f32 v48, |v80|, |v81|, v48                          // 00000001D454: D1D30330 04C2A350
	v_max3_f32 v48, |v82|, |v83|, v48                          // 00000001D45C: D1D30330 04C2A752
	v_max3_f32 v48, |v84|, |v85|, v48                          // 00000001D464: D1D30330 04C2AB54
	v_max3_f32 v48, |v86|, |v87|, v48                          // 00000001D46C: D1D30330 04C2AF56
	ds_write_b32 v8, v48 offset:16896                          // 00000001D474: D81A4200 00003008
	s_waitcnt lgkmcnt(0)                                       // 00000001D47C: BF8CC07F
	s_barrier                                                  // 00000001D480: BF8A0000
	ds_read_b32 v64, v7 offset:16896                           // 00000001D484: D86C4200 40000007
	ds_read_b32 v65, v7 offset:16960                           // 00000001D48C: D86C4240 41000007
	ds_read_b32 v66, v7 offset:17024                           // 00000001D494: D86C4280 42000007
	ds_read_b32 v67, v7 offset:17088                           // 00000001D49C: D86C42C0 43000007
	ds_read_b32 v68, v7 offset:17152                           // 00000001D4A4: D86C4300 44000007
	ds_read_b32 v69, v7 offset:17216                           // 00000001D4AC: D86C4340 45000007
	ds_read_b32 v70, v7 offset:17280                           // 00000001D4B4: D86C4380 46000007
	ds_read_b32 v71, v7 offset:17344                           // 00000001D4BC: D86C43C0 47000007
	ds_read_b32 v72, v7 offset:17408                           // 00000001D4C4: D86C4400 48000007
	ds_read_b32 v73, v7 offset:17472                           // 00000001D4CC: D86C4440 49000007
	ds_read_b32 v74, v7 offset:17536                           // 00000001D4D4: D86C4480 4A000007
	ds_read_b32 v75, v7 offset:17600                           // 00000001D4DC: D86C44C0 4B000007
	ds_read_b32 v76, v7 offset:17664                           // 00000001D4E4: D86C4500 4C000007
	ds_read_b32 v77, v7 offset:17728                           // 00000001D4EC: D86C4540 4D000007
	ds_read_b32 v78, v7 offset:17792                           // 00000001D4F4: D86C4580 4E000007
	ds_read_b32 v79, v7 offset:17856                           // 00000001D4FC: D86C45C0 4F000007
	s_waitcnt lgkmcnt(0)                                       // 00000001D504: BF8CC07F
	v_max3_f32 v48, |v64|, |v65|, v48                          // 00000001D508: D1D30330 04C28340
	v_max3_f32 v48, |v66|, |v67|, v48                          // 00000001D510: D1D30330 04C28742
	v_max3_f32 v48, |v68|, |v69|, v48                          // 00000001D518: D1D30330 04C28B44
	v_max3_f32 v48, |v70|, |v71|, v48                          // 00000001D520: D1D30330 04C28F46
	v_max3_f32 v48, |v72|, |v73|, v48                          // 00000001D528: D1D30330 04C29348
	v_max3_f32 v48, |v74|, |v75|, v48                          // 00000001D530: D1D30330 04C2974A
	v_max3_f32 v48, |v76|, |v77|, v48                          // 00000001D538: D1D30330 04C29B4C
	v_max3_f32 v48, |v78|, |v79|, v48                          // 00000001D540: D1D30330 04C29F4E
	v_rcp_f32_e32 v48, v48                                     // 00000001D548: 7E604530
	s_nop 1                                                    // 00000001D54C: BF800001
	v_mul_f32_e32 v48, 0x43700000, v48                         // 00000001D550: 0A6060FF 43700000
	v_mul_f32_e32 v80, v48, v80                                // 00000001D558: 0AA0A130
	v_mul_f32_e32 v81, v48, v81                                // 00000001D55C: 0AA2A330
	v_mul_f32_e32 v82, v48, v82                                // 00000001D560: 0AA4A530
	v_mul_f32_e32 v83, v48, v83                                // 00000001D564: 0AA6A730
	v_mul_f32_e32 v84, v48, v84                                // 00000001D568: 0AA8A930
	v_mul_f32_e32 v85, v48, v85                                // 00000001D56C: 0AAAAB30
	v_mul_f32_e32 v86, v48, v86                                // 00000001D570: 0AACAD30
	v_mul_f32_e32 v87, v48, v87                                // 00000001D574: 0AAEAF30
	v_rcp_f32_e32 v18, v48                                     // 00000001D578: 7E244530
	v_cvt_pk_fp8_f32 v80, v80, v81                             // 00000001D57C: D2A20050 0002A350
	v_cvt_pk_fp8_f32 v80, v82, v83 op_sel:[0,0,1]              // 00000001D584: D2A24050 0002A752
	v_cvt_pk_fp8_f32 v81, v84, v85                             // 00000001D58C: D2A20051 0002AB54
	v_cvt_pk_fp8_f32 v81, v86, v87 op_sel:[0,0,1]              // 00000001D594: D2A24051 0002AF56
	ds_write_b32 v10, v80 offset:25088                         // 00000001D59C: D81A6200 0000500A
	ds_write_b32 v10, v81 offset:26112                         // 00000001D5A4: D81A6600 0000510A
	s_waitcnt lgkmcnt(0)                                       // 00000001D5AC: BF8CC07F
	s_barrier                                                  // 00000001D5B0: BF8A0000
	ds_read_b64 v[80:81], v9 offset:25088                      // 00000001D5B4: D8EC6200 50000009
	ds_read_b64 v[82:83], v9 offset:25216                      // 00000001D5BC: D8EC6280 52000009
	ds_read_b64 v[84:85], v9 offset:26112                      // 00000001D5C4: D8EC6600 54000009
	ds_read_b64 v[86:87], v9 offset:26240                      // 00000001D5CC: D8EC6680 56000009
	v_mov_b32_e32 v208, 0                                      // 00000001D5D4: 7FA00280
	v_mov_b32_e32 v209, 0                                      // 00000001D5D8: 7FA20280
	v_mov_b32_e32 v210, 0                                      // 00000001D5DC: 7FA40280
	v_mov_b32_e32 v211, 0                                      // 00000001D5E0: 7FA60280
	v_mov_b32_e32 v212, 0                                      // 00000001D5E4: 7FA80280
	v_mov_b32_e32 v213, 0                                      // 00000001D5E8: 7FAA0280
	v_mov_b32_e32 v214, 0                                      // 00000001D5EC: 7FAC0280
	v_mov_b32_e32 v215, 0                                      // 00000001D5F0: 7FAE0280
	v_mov_b32_e32 v176, 0                                      // 00000001D5F4: 7F600280
	v_mov_b32_e32 v177, 0                                      // 00000001D5F8: 7F620280
	v_mov_b32_e32 v178, 0                                      // 00000001D5FC: 7F640280
	v_mov_b32_e32 v179, 0                                      // 00000001D600: 7F660280
	v_mov_b32_e32 v180, 0                                      // 00000001D604: 7F680280
	v_mov_b32_e32 v181, 0                                      // 00000001D608: 7F6A0280
	v_mov_b32_e32 v182, 0                                      // 00000001D60C: 7F6C0280
	v_mov_b32_e32 v183, 0                                      // 00000001D610: 7F6E0280
	ds_read_b64 v[88:89], v4 offset:4224                       // 00000001D614: D8EC1080 58000004
	ds_read_b64 v[92:93], v4 offset:4352                       // 00000001D61C: D8EC1100 5C000004
	s_waitcnt lgkmcnt(0)                                       // 00000001D624: BF8CC07F
	v_and_b32_e32 v64, 0xffff, v88                             // 00000001D628: 2680B0FF 0000FFFF
	v_lshrrev_b32_e32 v65, 16, v88                             // 00000001D630: 2082B090
	v_and_b32_e32 v66, 0xffff, v89                             // 00000001D634: 2684B2FF 0000FFFF
	v_lshrrev_b32_e32 v67, 16, v89                             // 00000001D63C: 2086B290
	v_cvt_f32_f16_e32 v88, v64                                 // 00000001D640: 7EB01740
	v_cvt_f32_f16_e32 v89, v65                                 // 00000001D644: 7EB21741
	v_cvt_f32_f16_e32 v90, v66                                 // 00000001D648: 7EB41742
	v_cvt_f32_f16_e32 v91, v67                                 // 00000001D64C: 7EB61743
	v_and_b32_e32 v64, 0xffff, v92                             // 00000001D650: 2680B8FF 0000FFFF
	v_lshrrev_b32_e32 v65, 16, v92                             // 00000001D658: 2082B890
	v_and_b32_e32 v66, 0xffff, v93                             // 00000001D65C: 2684BAFF 0000FFFF
	v_lshrrev_b32_e32 v67, 16, v93                             // 00000001D664: 2086BA90
	v_cvt_f32_f16_e32 v92, v64                                 // 00000001D668: 7EB81740
	v_cvt_f32_f16_e32 v93, v65                                 // 00000001D66C: 7EBA1741
	v_cvt_f32_f16_e32 v94, v66                                 // 00000001D670: 7EBC1742
	v_cvt_f32_f16_e32 v95, v67                                 // 00000001D674: 7EBE1743
	v_mov_b32_e32 v48, 0x358637bd                              // 00000001D678: 7E6002FF 358637BD
	v_max3_f32 v48, |v88|, |v89|, v48                          // 00000001D680: D1D30330 04C2B358
	v_max3_f32 v48, |v90|, |v91|, v48                          // 00000001D688: D1D30330 04C2B75A
	v_max3_f32 v48, |v92|, |v93|, v48                          // 00000001D690: D1D30330 04C2BB5C
	v_max3_f32 v48, |v94|, |v95|, v48                          // 00000001D698: D1D30330 04C2BF5E
	ds_write_b32 v8, v48 offset:16896                          // 00000001D6A0: D81A4200 00003008
	s_waitcnt lgkmcnt(0)                                       // 00000001D6A8: BF8CC07F
	s_barrier                                                  // 00000001D6AC: BF8A0000
	ds_read_b32 v64, v7 offset:16896                           // 00000001D6B0: D86C4200 40000007
	ds_read_b32 v65, v7 offset:16960                           // 00000001D6B8: D86C4240 41000007
	ds_read_b32 v66, v7 offset:17024                           // 00000001D6C0: D86C4280 42000007
	ds_read_b32 v67, v7 offset:17088                           // 00000001D6C8: D86C42C0 43000007
	ds_read_b32 v68, v7 offset:17152                           // 00000001D6D0: D86C4300 44000007
	ds_read_b32 v69, v7 offset:17216                           // 00000001D6D8: D86C4340 45000007
	ds_read_b32 v70, v7 offset:17280                           // 00000001D6E0: D86C4380 46000007
	ds_read_b32 v71, v7 offset:17344                           // 00000001D6E8: D86C43C0 47000007
	ds_read_b32 v72, v7 offset:17408                           // 00000001D6F0: D86C4400 48000007
	ds_read_b32 v73, v7 offset:17472                           // 00000001D6F8: D86C4440 49000007
	ds_read_b32 v74, v7 offset:17536                           // 00000001D700: D86C4480 4A000007
	ds_read_b32 v75, v7 offset:17600                           // 00000001D708: D86C44C0 4B000007
	ds_read_b32 v76, v7 offset:17664                           // 00000001D710: D86C4500 4C000007
	ds_read_b32 v77, v7 offset:17728                           // 00000001D718: D86C4540 4D000007
	ds_read_b32 v78, v7 offset:17792                           // 00000001D720: D86C4580 4E000007
	ds_read_b32 v79, v7 offset:17856                           // 00000001D728: D86C45C0 4F000007
	s_waitcnt lgkmcnt(0)                                       // 00000001D730: BF8CC07F
	v_max3_f32 v48, |v64|, |v65|, v48                          // 00000001D734: D1D30330 04C28340
	v_max3_f32 v48, |v66|, |v67|, v48                          // 00000001D73C: D1D30330 04C28742
	v_max3_f32 v48, |v68|, |v69|, v48                          // 00000001D744: D1D30330 04C28B44
	v_max3_f32 v48, |v70|, |v71|, v48                          // 00000001D74C: D1D30330 04C28F46
	v_max3_f32 v48, |v72|, |v73|, v48                          // 00000001D754: D1D30330 04C29348
	v_max3_f32 v48, |v74|, |v75|, v48                          // 00000001D75C: D1D30330 04C2974A
	v_max3_f32 v48, |v76|, |v77|, v48                          // 00000001D764: D1D30330 04C29B4C
	v_max3_f32 v48, |v78|, |v79|, v48                          // 00000001D76C: D1D30330 04C29F4E
	v_rcp_f32_e32 v48, v48                                     // 00000001D774: 7E604530
	s_nop 1                                                    // 00000001D778: BF800001
	v_mul_f32_e32 v48, 0x43700000, v48                         // 00000001D77C: 0A6060FF 43700000
	v_mul_f32_e32 v88, v48, v88                                // 00000001D784: 0AB0B130
	v_mul_f32_e32 v89, v48, v89                                // 00000001D788: 0AB2B330
	v_mul_f32_e32 v90, v48, v90                                // 00000001D78C: 0AB4B530
	v_mul_f32_e32 v91, v48, v91                                // 00000001D790: 0AB6B730
	v_mul_f32_e32 v92, v48, v92                                // 00000001D794: 0AB8B930
	v_mul_f32_e32 v93, v48, v93                                // 00000001D798: 0ABABB30
	v_mul_f32_e32 v94, v48, v94                                // 00000001D79C: 0ABCBD30
	v_mul_f32_e32 v95, v48, v95                                // 00000001D7A0: 0ABEBF30
	v_rcp_f32_e32 v19, v48                                     // 00000001D7A4: 7E264530
	v_cvt_pk_fp8_f32 v88, v88, v89                             // 00000001D7A8: D2A20058 0002B358
	v_cvt_pk_fp8_f32 v88, v90, v91 op_sel:[0,0,1]              // 00000001D7B0: D2A24058 0002B75A
	v_cvt_pk_fp8_f32 v89, v92, v93                             // 00000001D7B8: D2A20059 0002BB5C
	v_cvt_pk_fp8_f32 v89, v94, v95 op_sel:[0,0,1]              // 00000001D7C0: D2A24059 0002BF5E
	ds_write_b32 v10, v88 offset:25088                         // 00000001D7C8: D81A6200 0000580A
	ds_write_b32 v10, v89 offset:26112                         // 00000001D7D0: D81A6600 0000590A
	s_waitcnt lgkmcnt(0)                                       // 00000001D7D8: BF8CC07F
	s_barrier                                                  // 00000001D7DC: BF8A0000
	ds_read_b64 v[88:89], v9 offset:25088                      // 00000001D7E0: D8EC6200 58000009
	ds_read_b64 v[90:91], v9 offset:25216                      // 00000001D7E8: D8EC6280 5A000009
	ds_read_b64 v[92:93], v9 offset:26112                      // 00000001D7F0: D8EC6600 5C000009
	ds_read_b64 v[94:95], v9 offset:26240                      // 00000001D7F8: D8EC6680 5E000009
	v_mov_b32_e32 v216, 0                                      // 00000001D800: 7FB00280
	v_mov_b32_e32 v217, 0                                      // 00000001D804: 7FB20280
	v_mov_b32_e32 v218, 0                                      // 00000001D808: 7FB40280
	v_mov_b32_e32 v219, 0                                      // 00000001D80C: 7FB60280
	v_mov_b32_e32 v220, 0                                      // 00000001D810: 7FB80280
	v_mov_b32_e32 v221, 0                                      // 00000001D814: 7FBA0280
	v_mov_b32_e32 v222, 0                                      // 00000001D818: 7FBC0280
	v_mov_b32_e32 v223, 0                                      // 00000001D81C: 7FBE0280
	v_mov_b32_e32 v184, 0                                      // 00000001D820: 7F700280
	v_mov_b32_e32 v185, 0                                      // 00000001D824: 7F720280
	v_mov_b32_e32 v186, 0                                      // 00000001D828: 7F740280
	v_mov_b32_e32 v187, 0                                      // 00000001D82C: 7F760280
	v_mov_b32_e32 v188, 0                                      // 00000001D830: 7F780280
	v_mov_b32_e32 v189, 0                                      // 00000001D834: 7F7A0280
	v_mov_b32_e32 v190, 0                                      // 00000001D838: 7F7C0280
	v_mov_b32_e32 v191, 0                                      // 00000001D83C: 7F7E0280
	ds_read_b64 v[96:97], v4 offset:8448                       // 00000001D840: D8EC2100 60000004
	ds_read_b64 v[100:101], v4 offset:8576                     // 00000001D848: D8EC2180 64000004
	s_waitcnt lgkmcnt(0)                                       // 00000001D850: BF8CC07F
	v_and_b32_e32 v64, 0xffff, v96                             // 00000001D854: 2680C0FF 0000FFFF
	v_lshrrev_b32_e32 v65, 16, v96                             // 00000001D85C: 2082C090
	v_and_b32_e32 v66, 0xffff, v97                             // 00000001D860: 2684C2FF 0000FFFF
	v_lshrrev_b32_e32 v67, 16, v97                             // 00000001D868: 2086C290
	v_cvt_f32_f16_e32 v96, v64                                 // 00000001D86C: 7EC01740
	v_cvt_f32_f16_e32 v97, v65                                 // 00000001D870: 7EC21741
	v_cvt_f32_f16_e32 v98, v66                                 // 00000001D874: 7EC41742
	v_cvt_f32_f16_e32 v99, v67                                 // 00000001D878: 7EC61743
	v_and_b32_e32 v64, 0xffff, v100                            // 00000001D87C: 2680C8FF 0000FFFF
	v_lshrrev_b32_e32 v65, 16, v100                            // 00000001D884: 2082C890
	v_and_b32_e32 v66, 0xffff, v101                            // 00000001D888: 2684CAFF 0000FFFF
	v_lshrrev_b32_e32 v67, 16, v101                            // 00000001D890: 2086CA90
	v_cvt_f32_f16_e32 v100, v64                                // 00000001D894: 7EC81740
	v_cvt_f32_f16_e32 v101, v65                                // 00000001D898: 7ECA1741
	v_cvt_f32_f16_e32 v102, v66                                // 00000001D89C: 7ECC1742
	v_cvt_f32_f16_e32 v103, v67                                // 00000001D8A0: 7ECE1743
	v_mov_b32_e32 v48, 0x358637bd                              // 00000001D8A4: 7E6002FF 358637BD
	v_max3_f32 v48, |v96|, |v97|, v48                          // 00000001D8AC: D1D30330 04C2C360
	v_max3_f32 v48, |v98|, |v99|, v48                          // 00000001D8B4: D1D30330 04C2C762
	v_max3_f32 v48, |v100|, |v101|, v48                        // 00000001D8BC: D1D30330 04C2CB64
	v_max3_f32 v48, |v102|, |v103|, v48                        // 00000001D8C4: D1D30330 04C2CF66
	ds_write_b32 v8, v48 offset:16896                          // 00000001D8CC: D81A4200 00003008
	s_waitcnt lgkmcnt(0)                                       // 00000001D8D4: BF8CC07F
	s_barrier                                                  // 00000001D8D8: BF8A0000
	ds_read_b32 v64, v7 offset:16896                           // 00000001D8DC: D86C4200 40000007
	ds_read_b32 v65, v7 offset:16960                           // 00000001D8E4: D86C4240 41000007
	ds_read_b32 v66, v7 offset:17024                           // 00000001D8EC: D86C4280 42000007
	ds_read_b32 v67, v7 offset:17088                           // 00000001D8F4: D86C42C0 43000007
	ds_read_b32 v68, v7 offset:17152                           // 00000001D8FC: D86C4300 44000007
	ds_read_b32 v69, v7 offset:17216                           // 00000001D904: D86C4340 45000007
	ds_read_b32 v70, v7 offset:17280                           // 00000001D90C: D86C4380 46000007
	ds_read_b32 v71, v7 offset:17344                           // 00000001D914: D86C43C0 47000007
	ds_read_b32 v72, v7 offset:17408                           // 00000001D91C: D86C4400 48000007
	ds_read_b32 v73, v7 offset:17472                           // 00000001D924: D86C4440 49000007
	ds_read_b32 v74, v7 offset:17536                           // 00000001D92C: D86C4480 4A000007
	ds_read_b32 v75, v7 offset:17600                           // 00000001D934: D86C44C0 4B000007
	ds_read_b32 v76, v7 offset:17664                           // 00000001D93C: D86C4500 4C000007
	ds_read_b32 v77, v7 offset:17728                           // 00000001D944: D86C4540 4D000007
	ds_read_b32 v78, v7 offset:17792                           // 00000001D94C: D86C4580 4E000007
	ds_read_b32 v79, v7 offset:17856                           // 00000001D954: D86C45C0 4F000007
	s_waitcnt lgkmcnt(0)                                       // 00000001D95C: BF8CC07F
	v_max3_f32 v48, |v64|, |v65|, v48                          // 00000001D960: D1D30330 04C28340
	v_max3_f32 v48, |v66|, |v67|, v48                          // 00000001D968: D1D30330 04C28742
	v_max3_f32 v48, |v68|, |v69|, v48                          // 00000001D970: D1D30330 04C28B44
	v_max3_f32 v48, |v70|, |v71|, v48                          // 00000001D978: D1D30330 04C28F46
	v_max3_f32 v48, |v72|, |v73|, v48                          // 00000001D980: D1D30330 04C29348
	v_max3_f32 v48, |v74|, |v75|, v48                          // 00000001D988: D1D30330 04C2974A
	v_max3_f32 v48, |v76|, |v77|, v48                          // 00000001D990: D1D30330 04C29B4C
	v_max3_f32 v48, |v78|, |v79|, v48                          // 00000001D998: D1D30330 04C29F4E
	v_rcp_f32_e32 v48, v48                                     // 00000001D9A0: 7E604530
	s_nop 1                                                    // 00000001D9A4: BF800001
	v_mul_f32_e32 v48, 0x43700000, v48                         // 00000001D9A8: 0A6060FF 43700000
	v_mul_f32_e32 v96, v48, v96                                // 00000001D9B0: 0AC0C130
	v_mul_f32_e32 v97, v48, v97                                // 00000001D9B4: 0AC2C330
	v_mul_f32_e32 v98, v48, v98                                // 00000001D9B8: 0AC4C530
	v_mul_f32_e32 v99, v48, v99                                // 00000001D9BC: 0AC6C730
	v_mul_f32_e32 v100, v48, v100                              // 00000001D9C0: 0AC8C930
	v_mul_f32_e32 v101, v48, v101                              // 00000001D9C4: 0ACACB30
	v_mul_f32_e32 v102, v48, v102                              // 00000001D9C8: 0ACCCD30
	v_mul_f32_e32 v103, v48, v103                              // 00000001D9CC: 0ACECF30
	v_rcp_f32_e32 v20, v48                                     // 00000001D9D0: 7E284530
	v_cvt_pk_fp8_f32 v96, v96, v97                             // 00000001D9D4: D2A20060 0002C360
	v_cvt_pk_fp8_f32 v96, v98, v99 op_sel:[0,0,1]              // 00000001D9DC: D2A24060 0002C762
	v_cvt_pk_fp8_f32 v97, v100, v101                           // 00000001D9E4: D2A20061 0002CB64
	v_cvt_pk_fp8_f32 v97, v102, v103 op_sel:[0,0,1]            // 00000001D9EC: D2A24061 0002CF66
	ds_write_b32 v10, v96 offset:25088                         // 00000001D9F4: D81A6200 0000600A
	ds_write_b32 v10, v97 offset:26112                         // 00000001D9FC: D81A6600 0000610A
	s_waitcnt lgkmcnt(0)                                       // 00000001DA04: BF8CC07F
	s_barrier                                                  // 00000001DA08: BF8A0000
	ds_read_b64 v[96:97], v9 offset:25088                      // 00000001DA0C: D8EC6200 60000009
	ds_read_b64 v[98:99], v9 offset:25216                      // 00000001DA14: D8EC6280 62000009
	ds_read_b64 v[100:101], v9 offset:26112                    // 00000001DA1C: D8EC6600 64000009
	ds_read_b64 v[102:103], v9 offset:26240                    // 00000001DA24: D8EC6680 66000009
	v_mov_b32_e32 v224, 0                                      // 00000001DA2C: 7FC00280
	v_mov_b32_e32 v225, 0                                      // 00000001DA30: 7FC20280
	v_mov_b32_e32 v226, 0                                      // 00000001DA34: 7FC40280
	v_mov_b32_e32 v227, 0                                      // 00000001DA38: 7FC60280
	v_mov_b32_e32 v228, 0                                      // 00000001DA3C: 7FC80280
	v_mov_b32_e32 v229, 0                                      // 00000001DA40: 7FCA0280
	v_mov_b32_e32 v230, 0                                      // 00000001DA44: 7FCC0280
	v_mov_b32_e32 v231, 0                                      // 00000001DA48: 7FCE0280
	v_mov_b32_e32 v192, 0                                      // 00000001DA4C: 7F800280
	v_mov_b32_e32 v193, 0                                      // 00000001DA50: 7F820280
	v_mov_b32_e32 v194, 0                                      // 00000001DA54: 7F840280
	v_mov_b32_e32 v195, 0                                      // 00000001DA58: 7F860280
	v_mov_b32_e32 v196, 0                                      // 00000001DA5C: 7F880280
	v_mov_b32_e32 v197, 0                                      // 00000001DA60: 7F8A0280
	v_mov_b32_e32 v198, 0                                      // 00000001DA64: 7F8C0280
	v_mov_b32_e32 v199, 0                                      // 00000001DA68: 7F8E0280
	ds_read_b64 v[104:105], v4 offset:12672                    // 00000001DA6C: D8EC3180 68000004
	ds_read_b64 v[108:109], v4 offset:12800                    // 00000001DA74: D8EC3200 6C000004
	s_waitcnt lgkmcnt(0)                                       // 00000001DA7C: BF8CC07F
	v_and_b32_e32 v64, 0xffff, v104                            // 00000001DA80: 2680D0FF 0000FFFF
	v_lshrrev_b32_e32 v65, 16, v104                            // 00000001DA88: 2082D090
	v_and_b32_e32 v66, 0xffff, v105                            // 00000001DA8C: 2684D2FF 0000FFFF
	v_lshrrev_b32_e32 v67, 16, v105                            // 00000001DA94: 2086D290
	v_cvt_f32_f16_e32 v104, v64                                // 00000001DA98: 7ED01740
	v_cvt_f32_f16_e32 v105, v65                                // 00000001DA9C: 7ED21741
	v_cvt_f32_f16_e32 v106, v66                                // 00000001DAA0: 7ED41742
	v_cvt_f32_f16_e32 v107, v67                                // 00000001DAA4: 7ED61743
	v_and_b32_e32 v64, 0xffff, v108                            // 00000001DAA8: 2680D8FF 0000FFFF
	v_lshrrev_b32_e32 v65, 16, v108                            // 00000001DAB0: 2082D890
	v_and_b32_e32 v66, 0xffff, v109                            // 00000001DAB4: 2684DAFF 0000FFFF
	v_lshrrev_b32_e32 v67, 16, v109                            // 00000001DABC: 2086DA90
	v_cvt_f32_f16_e32 v108, v64                                // 00000001DAC0: 7ED81740
	v_cvt_f32_f16_e32 v109, v65                                // 00000001DAC4: 7EDA1741
	v_cvt_f32_f16_e32 v110, v66                                // 00000001DAC8: 7EDC1742
	v_cvt_f32_f16_e32 v111, v67                                // 00000001DACC: 7EDE1743
	v_mov_b32_e32 v48, 0x358637bd                              // 00000001DAD0: 7E6002FF 358637BD
	v_max3_f32 v48, |v104|, |v105|, v48                        // 00000001DAD8: D1D30330 04C2D368
	v_max3_f32 v48, |v106|, |v107|, v48                        // 00000001DAE0: D1D30330 04C2D76A
	v_max3_f32 v48, |v108|, |v109|, v48                        // 00000001DAE8: D1D30330 04C2DB6C
	v_max3_f32 v48, |v110|, |v111|, v48                        // 00000001DAF0: D1D30330 04C2DF6E
	ds_write_b32 v8, v48 offset:16896                          // 00000001DAF8: D81A4200 00003008
	s_waitcnt lgkmcnt(0)                                       // 00000001DB00: BF8CC07F
	s_barrier                                                  // 00000001DB04: BF8A0000
	ds_read_b32 v64, v7 offset:16896                           // 00000001DB08: D86C4200 40000007
	ds_read_b32 v65, v7 offset:16960                           // 00000001DB10: D86C4240 41000007
	ds_read_b32 v66, v7 offset:17024                           // 00000001DB18: D86C4280 42000007
	ds_read_b32 v67, v7 offset:17088                           // 00000001DB20: D86C42C0 43000007
	ds_read_b32 v68, v7 offset:17152                           // 00000001DB28: D86C4300 44000007
	ds_read_b32 v69, v7 offset:17216                           // 00000001DB30: D86C4340 45000007
	ds_read_b32 v70, v7 offset:17280                           // 00000001DB38: D86C4380 46000007
	ds_read_b32 v71, v7 offset:17344                           // 00000001DB40: D86C43C0 47000007
	ds_read_b32 v72, v7 offset:17408                           // 00000001DB48: D86C4400 48000007
	ds_read_b32 v73, v7 offset:17472                           // 00000001DB50: D86C4440 49000007
	ds_read_b32 v74, v7 offset:17536                           // 00000001DB58: D86C4480 4A000007
	ds_read_b32 v75, v7 offset:17600                           // 00000001DB60: D86C44C0 4B000007
	ds_read_b32 v76, v7 offset:17664                           // 00000001DB68: D86C4500 4C000007
	ds_read_b32 v77, v7 offset:17728                           // 00000001DB70: D86C4540 4D000007
	ds_read_b32 v78, v7 offset:17792                           // 00000001DB78: D86C4580 4E000007
	ds_read_b32 v79, v7 offset:17856                           // 00000001DB80: D86C45C0 4F000007
	s_waitcnt lgkmcnt(0)                                       // 00000001DB88: BF8CC07F
	v_max3_f32 v48, |v64|, |v65|, v48                          // 00000001DB8C: D1D30330 04C28340
	v_max3_f32 v48, |v66|, |v67|, v48                          // 00000001DB94: D1D30330 04C28742
	v_max3_f32 v48, |v68|, |v69|, v48                          // 00000001DB9C: D1D30330 04C28B44
	v_max3_f32 v48, |v70|, |v71|, v48                          // 00000001DBA4: D1D30330 04C28F46
	v_max3_f32 v48, |v72|, |v73|, v48                          // 00000001DBAC: D1D30330 04C29348
	v_max3_f32 v48, |v74|, |v75|, v48                          // 00000001DBB4: D1D30330 04C2974A
	v_max3_f32 v48, |v76|, |v77|, v48                          // 00000001DBBC: D1D30330 04C29B4C
	v_max3_f32 v48, |v78|, |v79|, v48                          // 00000001DBC4: D1D30330 04C29F4E
	v_rcp_f32_e32 v48, v48                                     // 00000001DBCC: 7E604530
	s_nop 1                                                    // 00000001DBD0: BF800001
	v_mul_f32_e32 v48, 0x43700000, v48                         // 00000001DBD4: 0A6060FF 43700000
	v_mul_f32_e32 v104, v48, v104                              // 00000001DBDC: 0AD0D130
	v_mul_f32_e32 v105, v48, v105                              // 00000001DBE0: 0AD2D330
	v_mul_f32_e32 v106, v48, v106                              // 00000001DBE4: 0AD4D530
	v_mul_f32_e32 v107, v48, v107                              // 00000001DBE8: 0AD6D730
	v_mul_f32_e32 v108, v48, v108                              // 00000001DBEC: 0AD8D930
	v_mul_f32_e32 v109, v48, v109                              // 00000001DBF0: 0ADADB30
	v_mul_f32_e32 v110, v48, v110                              // 00000001DBF4: 0ADCDD30
	v_mul_f32_e32 v111, v48, v111                              // 00000001DBF8: 0ADEDF30
	v_rcp_f32_e32 v21, v48                                     // 00000001DBFC: 7E2A4530
	v_cvt_pk_fp8_f32 v104, v104, v105                          // 00000001DC00: D2A20068 0002D368
	v_cvt_pk_fp8_f32 v104, v106, v107 op_sel:[0,0,1]           // 00000001DC08: D2A24068 0002D76A
	v_cvt_pk_fp8_f32 v105, v108, v109                          // 00000001DC10: D2A20069 0002DB6C
	v_cvt_pk_fp8_f32 v105, v110, v111 op_sel:[0,0,1]           // 00000001DC18: D2A24069 0002DF6E
	ds_write_b32 v10, v104 offset:25088                        // 00000001DC20: D81A6200 0000680A
	ds_write_b32 v10, v105 offset:26112                        // 00000001DC28: D81A6600 0000690A
	s_waitcnt lgkmcnt(0)                                       // 00000001DC30: BF8CC07F
	s_barrier                                                  // 00000001DC34: BF8A0000
	ds_read_b64 v[104:105], v9 offset:25088                    // 00000001DC38: D8EC6200 68000009
	ds_read_b64 v[106:107], v9 offset:25216                    // 00000001DC40: D8EC6280 6A000009
	ds_read_b64 v[108:109], v9 offset:26112                    // 00000001DC48: D8EC6600 6C000009
	ds_read_b64 v[110:111], v9 offset:26240                    // 00000001DC50: D8EC6680 6E000009
	v_mov_b32_e32 v232, 0                                      // 00000001DC58: 7FD00280
	v_mov_b32_e32 v233, 0                                      // 00000001DC5C: 7FD20280
	v_mov_b32_e32 v234, 0                                      // 00000001DC60: 7FD40280
	v_mov_b32_e32 v235, 0                                      // 00000001DC64: 7FD60280
	v_mov_b32_e32 v236, 0                                      // 00000001DC68: 7FD80280
	v_mov_b32_e32 v237, 0                                      // 00000001DC6C: 7FDA0280
	v_mov_b32_e32 v238, 0                                      // 00000001DC70: 7FDC0280
	v_mov_b32_e32 v239, 0                                      // 00000001DC74: 7FDE0280
	v_mov_b32_e32 v200, 0                                      // 00000001DC78: 7F900280
	v_mov_b32_e32 v201, 0                                      // 00000001DC7C: 7F920280
	v_mov_b32_e32 v202, 0                                      // 00000001DC80: 7F940280
	v_mov_b32_e32 v203, 0                                      // 00000001DC84: 7F960280
	v_mov_b32_e32 v204, 0                                      // 00000001DC88: 7F980280
	v_mov_b32_e32 v205, 0                                      // 00000001DC8C: 7F9A0280
	v_mov_b32_e32 v206, 0                                      // 00000001DC90: 7F9C0280
	v_mov_b32_e32 v207, 0                                      // 00000001DC94: 7F9E0280
	s_waitcnt vmcnt(8) lgkmcnt(0)                              // 00000001DC98: BF8C0078
	s_barrier                                                  // 00000001DC9C: BF8A0000
	s_cmp_lt_u32 s73, 16                                       // 00000001DCA0: BF0A9049
	s_cbranch_scc1 label_969D                                  // 00000001DCA4: BF8527F3
	s_cmp_lt_i32 s7, 2                                         // 00000001DCA8: BF048207
	s_cbranch_scc0 label_82A6                                  // 00000001DCAC: BF8413FA

000000000001dcb0 <label_6EAC>:
	s_waitcnt vmcnt(8) lgkmcnt(0)                              // 00000001DCB0: BF8C0078
	v_mul_u32_u24_dpp v64, v17, v54 row_newbcast:0 row_mask:0xf bank_mask:0xf// 00000001DCB4: 10806CFA FF015011
	v_mul_u32_u24_dpp v65, v17, v54 row_newbcast:4 row_mask:0xf bank_mask:0xf// 00000001DCBC: 10826CFA FF015411
	v_mul_u32_u24_dpp v66, v17, v54 row_newbcast:8 row_mask:0xf bank_mask:0xf// 00000001DCC4: 10846CFA FF015811
	v_mul_u32_u24_dpp v67, v17, v54 row_newbcast:12 row_mask:0xf bank_mask:0xf// 00000001DCCC: 10866CFA FF015C11
	v_add_u32_e32 v26, v64, v5                                 // 00000001DCD4: 68340B40
	v_add_u32_e32 v27, v65, v5                                 // 00000001DCD8: 68360B41
	v_add_u32_e32 v28, v66, v5                                 // 00000001DCDC: 68380B42
	v_add_u32_e32 v29, v67, v5                                 // 00000001DCE0: 683A0B43
	v_mul_u32_u24_dpp v64, v17, v63 quad_perm:[0,0,0,0] row_mask:0xf bank_mask:0xf// 00000001DCE4: 10807EFA FF000011
	v_add_u32_e32 v3, v64, v59                                 // 00000001DCEC: 68067740
	v_mul_u32_u24_dpp v64, v17, v63 quad_perm:[0,0,0,0] row_mask:0xf bank_mask:0xf// 00000001DCF0: 10807EFA FF000011
	v_add_u32_e32 v56, v64, v60                                // 00000001DCF8: 68707940
	v_mfma_f32_16x16x32_fp8_fp8 v[112:115], a[0:1], v[80:81], 0// 00000001DCFC: D3F30070 0A02A100
	v_mfma_f32_16x16x32_fp8_fp8 v[112:115], a[2:3], v[82:83], v[112:115]// 00000001DD04: D3F30070 0DC2A502
	buffer_load_dwordx4 a[32:35], v26, s[16:19], 0 offen       // 00000001DD0C: E05C1000 8084201A
	v_mfma_f32_16x16x32_fp8_fp8 v[112:115], a[4:5], v[84:85], v[112:115]// 00000001DD14: D3F30070 0DC2A904
	v_mfma_f32_16x16x32_fp8_fp8 v[112:115], a[6:7], v[86:87], v[112:115]// 00000001DD1C: D3F30070 0DC2AD06
	buffer_load_dword v16, v1, s[24:27], 0 offen               // 00000001DD24: E0501000 80061001
	v_mfma_f32_16x16x32_fp8_fp8 v[116:119], a[8:9], v[80:81], 0// 00000001DD2C: D3F30074 0A02A108
	v_mfma_f32_16x16x32_fp8_fp8 v[116:119], a[10:11], v[82:83], v[116:119]// 00000001DD34: D3F30074 0DD2A50A
	buffer_load_dwordx4 a[36:39], v26, s[16:19], 0 offen offset:1024// 00000001DD3C: E05C1400 8084241A
	v_mfma_f32_16x16x32_fp8_fp8 v[116:119], a[12:13], v[84:85], v[116:119]// 00000001DD44: D3F30074 0DD2A90C
	v_mfma_f32_16x16x32_fp8_fp8 v[116:119], a[14:15], v[86:87], v[116:119]// 00000001DD4C: D3F30074 0DD2AD0E
	v_mfma_f32_16x16x32_fp8_fp8 v[120:123], a[16:17], v[80:81], 0// 00000001DD54: D3F30078 0A02A110
	v_mfma_f32_16x16x32_fp8_fp8 v[120:123], a[18:19], v[82:83], v[120:123]// 00000001DD5C: D3F30078 0DE2A512
	buffer_load_dwordx4 a[40:43], v27, s[16:19], 0 offen       // 00000001DD64: E05C1000 8084281B
	v_mfma_f32_16x16x32_fp8_fp8 v[120:123], a[20:21], v[84:85], v[120:123]// 00000001DD6C: D3F30078 0DE2A914
	v_mfma_f32_16x16x32_fp8_fp8 v[120:123], a[22:23], v[86:87], v[120:123]// 00000001DD74: D3F30078 0DE2AD16
	v_mfma_f32_16x16x32_fp8_fp8 v[124:127], a[24:25], v[80:81], 0// 00000001DD7C: D3F3007C 0A02A118
	v_mfma_f32_16x16x32_fp8_fp8 v[124:127], a[26:27], v[82:83], v[124:127]// 00000001DD84: D3F3007C 0DF2A51A
	buffer_load_dwordx4 a[44:47], v27, s[16:19], 0 offen offset:1024// 00000001DD8C: E05C1400 80842C1B
	v_mfma_f32_16x16x32_fp8_fp8 v[124:127], a[28:29], v[84:85], v[124:127]// 00000001DD94: D3F3007C 0DF2A91C
	v_mfma_f32_16x16x32_fp8_fp8 v[124:127], a[30:31], v[86:87], v[124:127]// 00000001DD9C: D3F3007C 0DF2AD1E
	v_mfma_f32_16x16x32_fp8_fp8 v[128:131], a[0:1], v[88:89], 0// 00000001DDA4: D3F30080 0A02B100
	v_mfma_f32_16x16x32_fp8_fp8 v[128:131], a[2:3], v[90:91], v[128:131]// 00000001DDAC: D3F30080 0E02B502
	v_mfma_f32_16x16x32_fp8_fp8 v[128:131], a[4:5], v[92:93], v[128:131]// 00000001DDB4: D3F30080 0E02B904
	v_mfma_f32_16x16x32_fp8_fp8 v[128:131], a[6:7], v[94:95], v[128:131]// 00000001DDBC: D3F30080 0E02BD06
	v_mfma_f32_16x16x32_fp8_fp8 v[132:135], a[8:9], v[88:89], 0// 00000001DDC4: D3F30084 0A02B108
	v_mfma_f32_16x16x32_fp8_fp8 v[132:135], a[10:11], v[90:91], v[132:135]// 00000001DDCC: D3F30084 0E12B50A
	v_mfma_f32_16x16x32_fp8_fp8 v[132:135], a[12:13], v[92:93], v[132:135]// 00000001DDD4: D3F30084 0E12B90C
	v_mfma_f32_16x16x32_fp8_fp8 v[132:135], a[14:15], v[94:95], v[132:135]// 00000001DDDC: D3F30084 0E12BD0E
	v_mfma_f32_16x16x32_fp8_fp8 v[136:139], a[16:17], v[88:89], 0// 00000001DDE4: D3F30088 0A02B110
	v_mfma_f32_16x16x32_fp8_fp8 v[136:139], a[18:19], v[90:91], v[136:139]// 00000001DDEC: D3F30088 0E22B512
	v_mfma_f32_16x16x32_fp8_fp8 v[136:139], a[20:21], v[92:93], v[136:139]// 00000001DDF4: D3F30088 0E22B914
	v_mfma_f32_16x16x32_fp8_fp8 v[136:139], a[22:23], v[94:95], v[136:139]// 00000001DDFC: D3F30088 0E22BD16
	v_mfma_f32_16x16x32_fp8_fp8 v[140:143], a[24:25], v[88:89], 0// 00000001DE04: D3F3008C 0A02B118
	v_mfma_f32_16x16x32_fp8_fp8 v[140:143], a[26:27], v[90:91], v[140:143]// 00000001DE0C: D3F3008C 0E32B51A
	v_mfma_f32_16x16x32_fp8_fp8 v[140:143], a[28:29], v[92:93], v[140:143]// 00000001DE14: D3F3008C 0E32B91C
	v_mfma_f32_16x16x32_fp8_fp8 v[140:143], a[30:31], v[94:95], v[140:143]// 00000001DE1C: D3F3008C 0E32BD1E
	v_mfma_f32_16x16x32_fp8_fp8 v[144:147], a[0:1], v[96:97], 0// 00000001DE24: D3F30090 0A02C100
	v_mfma_f32_16x16x32_fp8_fp8 v[144:147], a[2:3], v[98:99], v[144:147]// 00000001DE2C: D3F30090 0E42C502
	v_mfma_f32_16x16x32_fp8_fp8 v[144:147], a[4:5], v[100:101], v[144:147]// 00000001DE34: D3F30090 0E42C904
	v_mfma_f32_16x16x32_fp8_fp8 v[144:147], a[6:7], v[102:103], v[144:147]// 00000001DE3C: D3F30090 0E42CD06
	v_mfma_f32_16x16x32_fp8_fp8 v[148:151], a[8:9], v[96:97], 0// 00000001DE44: D3F30094 0A02C108
	v_mfma_f32_16x16x32_fp8_fp8 v[148:151], a[10:11], v[98:99], v[148:151]// 00000001DE4C: D3F30094 0E52C50A
	v_mfma_f32_16x16x32_fp8_fp8 v[148:151], a[12:13], v[100:101], v[148:151]// 00000001DE54: D3F30094 0E52C90C
	v_mfma_f32_16x16x32_fp8_fp8 v[148:151], a[14:15], v[102:103], v[148:151]// 00000001DE5C: D3F30094 0E52CD0E
	v_mfma_f32_16x16x32_fp8_fp8 v[152:155], a[16:17], v[96:97], 0// 00000001DE64: D3F30098 0A02C110
	v_mfma_f32_16x16x32_fp8_fp8 v[152:155], a[18:19], v[98:99], v[152:155]// 00000001DE6C: D3F30098 0E62C512
	v_mfma_f32_16x16x32_fp8_fp8 v[152:155], a[20:21], v[100:101], v[152:155]// 00000001DE74: D3F30098 0E62C914
	v_mfma_f32_16x16x32_fp8_fp8 v[152:155], a[22:23], v[102:103], v[152:155]// 00000001DE7C: D3F30098 0E62CD16
	v_mfma_f32_16x16x32_fp8_fp8 v[156:159], a[24:25], v[96:97], 0// 00000001DE84: D3F3009C 0A02C118
	v_mfma_f32_16x16x32_fp8_fp8 v[156:159], a[26:27], v[98:99], v[156:159]// 00000001DE8C: D3F3009C 0E72C51A
	v_mfma_f32_16x16x32_fp8_fp8 v[156:159], a[28:29], v[100:101], v[156:159]// 00000001DE94: D3F3009C 0E72C91C
	v_mfma_f32_16x16x32_fp8_fp8 v[156:159], a[30:31], v[102:103], v[156:159]// 00000001DE9C: D3F3009C 0E72CD1E
	v_mfma_f32_16x16x32_fp8_fp8 v[160:163], a[0:1], v[104:105], 0// 00000001DEA4: D3F300A0 0A02D100
	v_mfma_f32_16x16x32_fp8_fp8 v[160:163], a[2:3], v[106:107], v[160:163]// 00000001DEAC: D3F300A0 0E82D502
	v_mfma_f32_16x16x32_fp8_fp8 v[160:163], a[4:5], v[108:109], v[160:163]// 00000001DEB4: D3F300A0 0E82D904
	v_mfma_f32_16x16x32_fp8_fp8 v[160:163], a[6:7], v[110:111], v[160:163]// 00000001DEBC: D3F300A0 0E82DD06
	v_mfma_f32_16x16x32_fp8_fp8 v[164:167], a[8:9], v[104:105], 0// 00000001DEC4: D3F300A4 0A02D108
	v_mfma_f32_16x16x32_fp8_fp8 v[164:167], a[10:11], v[106:107], v[164:167]// 00000001DECC: D3F300A4 0E92D50A
	v_mfma_f32_16x16x32_fp8_fp8 v[164:167], a[12:13], v[108:109], v[164:167]// 00000001DED4: D3F300A4 0E92D90C
	v_mfma_f32_16x16x32_fp8_fp8 v[164:167], a[14:15], v[110:111], v[164:167]// 00000001DEDC: D3F300A4 0E92DD0E
	v_mfma_f32_16x16x32_fp8_fp8 v[168:171], a[16:17], v[104:105], 0// 00000001DEE4: D3F300A8 0A02D110
	v_mfma_f32_16x16x32_fp8_fp8 v[168:171], a[18:19], v[106:107], v[168:171]// 00000001DEEC: D3F300A8 0EA2D512
	v_mfma_f32_16x16x32_fp8_fp8 v[168:171], a[20:21], v[108:109], v[168:171]// 00000001DEF4: D3F300A8 0EA2D914
	v_mfma_f32_16x16x32_fp8_fp8 v[168:171], a[22:23], v[110:111], v[168:171]// 00000001DEFC: D3F300A8 0EA2DD16
	v_mfma_f32_16x16x32_fp8_fp8 v[172:175], a[24:25], v[104:105], 0// 00000001DF04: D3F300AC 0A02D118
	v_mfma_f32_16x16x32_fp8_fp8 v[172:175], a[26:27], v[106:107], v[172:175]// 00000001DF0C: D3F300AC 0EB2D51A
	v_mfma_f32_16x16x32_fp8_fp8 v[172:175], a[28:29], v[108:109], v[172:175]// 00000001DF14: D3F300AC 0EB2D91C
	v_mfma_f32_16x16x32_fp8_fp8 v[172:175], a[30:31], v[110:111], v[172:175]// 00000001DF1C: D3F300AC 0EB2DD1E
	buffer_load_dword v43, v3, s[32:35], 0 offen               // 00000001DF24: E0501000 80082B03
	v_mov_b32_dpp v64, v42 row_shr:4 row_mask:0xf bank_mask:0xf// 00000001DF2C: 7E8002FA FF01142A
	v_mov_b32_dpp v65, v42 row_shl:4 row_mask:0xf bank_mask:0xf// 00000001DF34: 7E8202FA FF01042A
	v_cndmask_b32_e64 v248, v42, v64, s[44:45]                 // 00000001DF3C: D10000F8 00B2812A
	v_cndmask_b32_e64 v249, v65, v42, s[44:45]                 // 00000001DF44: D10000F9 00B25541
	v_mov_b32_dpp v64, v248 row_shr:8 row_mask:0xf bank_mask:0xf// 00000001DF4C: 7E8002FA FF0118F8
	v_mov_b32_dpp v65, v248 row_shl:8 row_mask:0xf bank_mask:0xf// 00000001DF54: 7E8202FA FF0108F8
	v_mov_b32_dpp v66, v249 row_shr:8 row_mask:0xf bank_mask:0xf// 00000001DF5C: 7E8402FA FF0118F9
	v_mov_b32_dpp v67, v249 row_shl:8 row_mask:0xf bank_mask:0xf// 00000001DF64: 7E8602FA FF0108F9
	v_mov_b32_e32 v68, v248                                    // 00000001DF6C: 7E8803F8
	v_mov_b32_e32 v69, v249                                    // 00000001DF70: 7E8A03F9
	v_cndmask_b32_e64 v248, v68, v64, s[42:43]                 // 00000001DF74: D10000F8 00AA8144
	v_cndmask_b32_e64 v250, v68, v65, s[78:79]                 // 00000001DF7C: D10000FA 013A8344
	v_cndmask_b32_e64 v249, v69, v66, s[42:43]                 // 00000001DF84: D10000F9 00AA8545
	v_cndmask_b32_e64 v251, v69, v67, s[78:79]                 // 00000001DF8C: D10000FB 013A8745
	v_mov_b32_dpp v64, v57 row_shr:4 row_mask:0xf bank_mask:0xf// 00000001DF94: 7E8002FA FF011439
	v_mov_b32_dpp v65, v57 row_shl:4 row_mask:0xf bank_mask:0xf// 00000001DF9C: 7E8202FA FF010439
	v_cndmask_b32_e64 v252, v57, v64, s[44:45]                 // 00000001DFA4: D10000FC 00B28139
	v_cndmask_b32_e64 v253, v65, v57, s[44:45]                 // 00000001DFAC: D10000FD 00B27341
	v_mov_b32_dpp v64, v252 row_shr:8 row_mask:0xf bank_mask:0xf// 00000001DFB4: 7E8002FA FF0118FC
	v_mov_b32_dpp v65, v252 row_shl:8 row_mask:0xf bank_mask:0xf// 00000001DFBC: 7E8202FA FF0108FC
	v_mov_b32_dpp v66, v253 row_shr:8 row_mask:0xf bank_mask:0xf// 00000001DFC4: 7E8402FA FF0118FD
	v_mov_b32_dpp v67, v253 row_shl:8 row_mask:0xf bank_mask:0xf// 00000001DFCC: 7E8602FA FF0108FD
	v_mov_b32_e32 v68, v252                                    // 00000001DFD4: 7E8803FC
	v_mov_b32_e32 v69, v253                                    // 00000001DFD8: 7E8A03FD
	v_cndmask_b32_e64 v252, v68, v64, s[42:43]                 // 00000001DFDC: D10000FC 00AA8144
	v_cndmask_b32_e64 v254, v68, v65, s[78:79]                 // 00000001DFE4: D10000FE 013A8344
	v_cndmask_b32_e64 v253, v69, v66, s[42:43]                 // 00000001DFEC: D10000FD 00AA8545
	v_cndmask_b32_e64 v255, v69, v67, s[78:79]                 // 00000001DFF4: D10000FF 013A8745
	buffer_load_dword v58, v56, s[36:39], 0 offen              // 00000001DFFC: E0501000 80093A38
	v_mul_f32_e32 v112, v18, v112                              // 00000001E004: 0AE0E112
	v_mul_f32_e32 v113, v18, v113                              // 00000001E008: 0AE2E312
	v_mul_f32_e32 v114, v18, v114                              // 00000001E00C: 0AE4E512
	v_mul_f32_e32 v115, v18, v115                              // 00000001E010: 0AE6E712
	v_mul_f32_e32 v116, v18, v116                              // 00000001E014: 0AE8E912
	v_mul_f32_e32 v117, v18, v117                              // 00000001E018: 0AEAEB12
	v_mul_f32_e32 v118, v18, v118                              // 00000001E01C: 0AECED12
	v_mul_f32_e32 v119, v18, v119                              // 00000001E020: 0AEEEF12
	v_mul_f32_e32 v120, v18, v120                              // 00000001E024: 0AF0F112
	v_mul_f32_e32 v121, v18, v121                              // 00000001E028: 0AF2F312
	v_mul_f32_e32 v122, v18, v122                              // 00000001E02C: 0AF4F512
	v_mul_f32_e32 v123, v18, v123                              // 00000001E030: 0AF6F712
	v_mul_f32_e32 v124, v18, v124                              // 00000001E034: 0AF8F912
	v_mul_f32_e32 v125, v18, v125                              // 00000001E038: 0AFAFB12
	v_mul_f32_e32 v126, v18, v126                              // 00000001E03C: 0AFCFD12
	v_mul_f32_e32 v127, v18, v127                              // 00000001E040: 0AFEFF12
	buffer_load_dwordx4 a[48:51], v28, s[16:19], 0 offen       // 00000001E044: E05C1000 8084301C
	v_mul_f32_dpp v112, v248, v112 quad_perm:[0,0,0,0] row_mask:0xf bank_mask:0xf// 00000001E04C: 0AE0E0FA FF0000F8
	v_mul_f32_dpp v113, v248, v113 quad_perm:[1,1,1,1] row_mask:0xf bank_mask:0xf// 00000001E054: 0AE2E2FA FF0055F8
	v_mul_f32_dpp v114, v248, v114 quad_perm:[2,2,2,2] row_mask:0xf bank_mask:0xf// 00000001E05C: 0AE4E4FA FF00AAF8
	v_mul_f32_dpp v115, v248, v115 quad_perm:[3,3,3,3] row_mask:0xf bank_mask:0xf// 00000001E064: 0AE6E6FA FF00FFF8
	v_mul_f32_dpp v116, v249, v116 quad_perm:[0,0,0,0] row_mask:0xf bank_mask:0xf// 00000001E06C: 0AE8E8FA FF0000F9
	v_mul_f32_dpp v117, v249, v117 quad_perm:[1,1,1,1] row_mask:0xf bank_mask:0xf// 00000001E074: 0AEAEAFA FF0055F9
	v_mul_f32_dpp v118, v249, v118 quad_perm:[2,2,2,2] row_mask:0xf bank_mask:0xf// 00000001E07C: 0AECECFA FF00AAF9
	v_mul_f32_dpp v119, v249, v119 quad_perm:[3,3,3,3] row_mask:0xf bank_mask:0xf// 00000001E084: 0AEEEEFA FF00FFF9
	v_mul_f32_dpp v120, v250, v120 quad_perm:[0,0,0,0] row_mask:0xf bank_mask:0xf// 00000001E08C: 0AF0F0FA FF0000FA
	v_mul_f32_dpp v121, v250, v121 quad_perm:[1,1,1,1] row_mask:0xf bank_mask:0xf// 00000001E094: 0AF2F2FA FF0055FA
	v_mul_f32_dpp v122, v250, v122 quad_perm:[2,2,2,2] row_mask:0xf bank_mask:0xf// 00000001E09C: 0AF4F4FA FF00AAFA
	v_mul_f32_dpp v123, v250, v123 quad_perm:[3,3,3,3] row_mask:0xf bank_mask:0xf// 00000001E0A4: 0AF6F6FA FF00FFFA
	v_mul_f32_dpp v124, v251, v124 quad_perm:[0,0,0,0] row_mask:0xf bank_mask:0xf// 00000001E0AC: 0AF8F8FA FF0000FB
	v_mul_f32_dpp v125, v251, v125 quad_perm:[1,1,1,1] row_mask:0xf bank_mask:0xf// 00000001E0B4: 0AFAFAFA FF0055FB
	v_mul_f32_dpp v126, v251, v126 quad_perm:[2,2,2,2] row_mask:0xf bank_mask:0xf// 00000001E0BC: 0AFCFCFA FF00AAFB
	v_mul_f32_dpp v127, v251, v127 quad_perm:[3,3,3,3] row_mask:0xf bank_mask:0xf// 00000001E0C4: 0AFEFEFA FF00FFFB
	buffer_load_dwordx4 a[52:55], v28, s[16:19], 0 offen offset:1024// 00000001E0CC: E05C1400 8084341C
	s_cmp_le_i32 s90, s89                                      // 00000001E0D4: BF05595A
	s_cbranch_scc1 label_7028                                  // 00000001E0D8: BF850071
	v_mov_b32_e32 v66, 0xff800000                              // 00000001E0DC: 7E8402FF FF800000
	s_mov_b32 s60, s90                                         // 00000001E0E4: BEBC005A
	s_add_u32 s61, s89, 0xff                                   // 00000001E0E8: 803DFF59 000000FF
	v_mov_b32_e32 v64, s61                                     // 00000001E0F0: 7E80023D
	v_lshrrev_b32_e32 v240, 4, v0                              // 00000001E0F4: 21E00084
	v_mul_i32_i24_e32 v240, 4, v240                            // 00000001E0F8: 0DE1E084
	v_add_u32_e32 v240, s60, v240                              // 00000001E0FC: 69E1E03C
	s_mov_b32 s61, 0                                           // 00000001E100: BEBD0080
	s_mul_i32 s60, 16, s7                                      // 00000001E104: 923C0790
	v_sub_u32_e64 v240, v240, s61                              // 00000001E108: D13500F0 00007BF0
	v_add_u32_e32 v240, s60, v240                              // 00000001E110: 69E1E03C
	v_add_u32_e32 v241, 1, v240                                // 00000001E114: 69E3E081
	v_add_u32_e32 v242, 2, v240                                // 00000001E118: 69E5E082
	v_add_u32_e32 v243, 3, v240                                // 00000001E11C: 69E7E083
	v_cmp_le_u32_e64 s[40:41], v240, v64                       // 00000001E120: D0CB0028 000281F0
	v_add_u32_e32 v240, 64, v240                               // 00000001E128: 69E1E0C0
	s_nop 0                                                    // 00000001E12C: BF800000
	v_cndmask_b32_e64 v112, v66, v112, s[40:41]                // 00000001E130: D1000070 00A2E142
	v_cmp_le_u32_e64 s[40:41], v241, v64                       // 00000001E138: D0CB0028 000281F1
	v_add_u32_e32 v241, 64, v241                               // 00000001E140: 69E3E2C0
	s_nop 0                                                    // 00000001E144: BF800000
	v_cndmask_b32_e64 v113, v66, v113, s[40:41]                // 00000001E148: D1000071 00A2E342
	v_cmp_le_u32_e64 s[40:41], v242, v64                       // 00000001E150: D0CB0028 000281F2
	v_add_u32_e32 v242, 64, v242                               // 00000001E158: 69E5E4C0
	s_nop 0                                                    // 00000001E15C: BF800000
	v_cndmask_b32_e64 v114, v66, v114, s[40:41]                // 00000001E160: D1000072 00A2E542
	v_cmp_le_u32_e64 s[40:41], v243, v64                       // 00000001E168: D0CB0028 000281F3
	v_add_u32_e32 v243, 64, v243                               // 00000001E170: 69E7E6C0
	s_nop 0                                                    // 00000001E174: BF800000
	v_cndmask_b32_e64 v115, v66, v115, s[40:41]                // 00000001E178: D1000073 00A2E742
	v_cmp_le_u32_e64 s[40:41], v240, v64                       // 00000001E180: D0CB0028 000281F0
	v_add_u32_e32 v240, 64, v240                               // 00000001E188: 69E1E0C0
	s_nop 0                                                    // 00000001E18C: BF800000
	v_cndmask_b32_e64 v116, v66, v116, s[40:41]                // 00000001E190: D1000074 00A2E942
	v_cmp_le_u32_e64 s[40:41], v241, v64                       // 00000001E198: D0CB0028 000281F1
	v_add_u32_e32 v241, 64, v241                               // 00000001E1A0: 69E3E2C0
	s_nop 0                                                    // 00000001E1A4: BF800000
	v_cndmask_b32_e64 v117, v66, v117, s[40:41]                // 00000001E1A8: D1000075 00A2EB42
	v_cmp_le_u32_e64 s[40:41], v242, v64                       // 00000001E1B0: D0CB0028 000281F2
	v_add_u32_e32 v242, 64, v242                               // 00000001E1B8: 69E5E4C0
	s_nop 0                                                    // 00000001E1BC: BF800000
	v_cndmask_b32_e64 v118, v66, v118, s[40:41]                // 00000001E1C0: D1000076 00A2ED42
	v_cmp_le_u32_e64 s[40:41], v243, v64                       // 00000001E1C8: D0CB0028 000281F3
	v_add_u32_e32 v243, 64, v243                               // 00000001E1D0: 69E7E6C0
	s_nop 0                                                    // 00000001E1D4: BF800000
	v_cndmask_b32_e64 v119, v66, v119, s[40:41]                // 00000001E1D8: D1000077 00A2EF42
	v_cmp_le_u32_e64 s[40:41], v240, v64                       // 00000001E1E0: D0CB0028 000281F0
	v_add_u32_e32 v240, 64, v240                               // 00000001E1E8: 69E1E0C0
	s_nop 0                                                    // 00000001E1EC: BF800000
	v_cndmask_b32_e64 v120, v66, v120, s[40:41]                // 00000001E1F0: D1000078 00A2F142
	v_cmp_le_u32_e64 s[40:41], v241, v64                       // 00000001E1F8: D0CB0028 000281F1
	v_add_u32_e32 v241, 64, v241                               // 00000001E200: 69E3E2C0
	s_nop 0                                                    // 00000001E204: BF800000
	v_cndmask_b32_e64 v121, v66, v121, s[40:41]                // 00000001E208: D1000079 00A2F342
	v_cmp_le_u32_e64 s[40:41], v242, v64                       // 00000001E210: D0CB0028 000281F2
	v_add_u32_e32 v242, 64, v242                               // 00000001E218: 69E5E4C0
	s_nop 0                                                    // 00000001E21C: BF800000
	v_cndmask_b32_e64 v122, v66, v122, s[40:41]                // 00000001E220: D100007A 00A2F542
	v_cmp_le_u32_e64 s[40:41], v243, v64                       // 00000001E228: D0CB0028 000281F3
	v_add_u32_e32 v243, 64, v243                               // 00000001E230: 69E7E6C0
	s_nop 0                                                    // 00000001E234: BF800000
	v_cndmask_b32_e64 v123, v66, v123, s[40:41]                // 00000001E238: D100007B 00A2F742
	v_cmp_le_u32_e64 s[40:41], v240, v64                       // 00000001E240: D0CB0028 000281F0
	v_add_u32_e32 v240, 64, v240                               // 00000001E248: 69E1E0C0
	s_nop 0                                                    // 00000001E24C: BF800000
	v_cndmask_b32_e64 v124, v66, v124, s[40:41]                // 00000001E250: D100007C 00A2F942
	v_cmp_le_u32_e64 s[40:41], v241, v64                       // 00000001E258: D0CB0028 000281F1
	v_add_u32_e32 v241, 64, v241                               // 00000001E260: 69E3E2C0
	s_nop 0                                                    // 00000001E264: BF800000
	v_cndmask_b32_e64 v125, v66, v125, s[40:41]                // 00000001E268: D100007D 00A2FB42
	v_cmp_le_u32_e64 s[40:41], v242, v64                       // 00000001E270: D0CB0028 000281F2
	v_add_u32_e32 v242, 64, v242                               // 00000001E278: 69E5E4C0
	s_nop 0                                                    // 00000001E27C: BF800000
	v_cndmask_b32_e64 v126, v66, v126, s[40:41]                // 00000001E280: D100007E 00A2FD42
	v_cmp_le_u32_e64 s[40:41], v243, v64                       // 00000001E288: D0CB0028 000281F3
	v_add_u32_e32 v243, 64, v243                               // 00000001E290: 69E7E6C0
	s_nop 0                                                    // 00000001E294: BF800000
	v_cndmask_b32_e64 v127, v66, v127, s[40:41]                // 00000001E298: D100007F 00A2FF42

000000000001e2a0 <label_7028>:
	v_mov_b32_e32 v48, v112                                    // 00000001E2A0: 7E600370
	v_max3_f32 v48, v112, v113, v48                            // 00000001E2A4: D1D30030 04C2E370
	v_max3_f32 v48, v114, v115, v48                            // 00000001E2AC: D1D30030 04C2E772
	v_max3_f32 v48, v116, v117, v48                            // 00000001E2B4: D1D30030 04C2EB74
	v_max3_f32 v48, v118, v119, v48                            // 00000001E2BC: D1D30030 04C2EF76
	v_max3_f32 v48, v120, v121, v48                            // 00000001E2C4: D1D30030 04C2F378
	v_max3_f32 v48, v122, v123, v48                            // 00000001E2CC: D1D30030 04C2F77A
	v_max3_f32 v48, v124, v125, v48                            // 00000001E2D4: D1D30030 04C2FB7C
	v_max3_f32 v48, v126, v127, v48                            // 00000001E2DC: D1D30030 04C2FF7E
	ds_write_b32 v8, v48 offset:16896                          // 00000001E2E4: D81A4200 00003008
	buffer_load_dwordx4 a[56:59], v29, s[16:19], 0 offen       // 00000001E2EC: E05C1000 8084381D
	v_mul_u32_u24_dpp v64, v17, v54 row_newbcast:1 row_mask:0xf bank_mask:0xf// 00000001E2F4: 10806CFA FF015111
	v_mul_u32_u24_dpp v65, v17, v54 row_newbcast:5 row_mask:0xf bank_mask:0xf// 00000001E2FC: 10826CFA FF015511
	v_mul_u32_u24_dpp v66, v17, v54 row_newbcast:9 row_mask:0xf bank_mask:0xf// 00000001E304: 10846CFA FF015911
	v_mul_u32_u24_dpp v67, v17, v54 row_newbcast:13 row_mask:0xf bank_mask:0xf// 00000001E30C: 10866CFA FF015D11
	v_add_u32_e32 v34, v64, v6                                 // 00000001E314: 68440D40
	v_add_u32_e32 v35, v65, v6                                 // 00000001E318: 68460D41
	v_add_u32_e32 v36, v66, v6                                 // 00000001E31C: 68480D42
	v_add_u32_e32 v37, v67, v6                                 // 00000001E320: 684A0D43
	v_mul_f32_e32 v208, v49, v208                              // 00000001E324: 0BA1A131
	v_mul_f32_e32 v209, v49, v209                              // 00000001E328: 0BA3A331
	v_mul_f32_e32 v210, v49, v210                              // 00000001E32C: 0BA5A531
	v_mul_f32_e32 v211, v49, v211                              // 00000001E330: 0BA7A731
	v_mul_f32_e32 v212, v49, v212                              // 00000001E334: 0BA9A931
	v_mul_f32_e32 v213, v49, v213                              // 00000001E338: 0BABAB31
	v_mul_f32_e32 v214, v49, v214                              // 00000001E33C: 0BADAD31
	v_mul_f32_e32 v215, v49, v215                              // 00000001E340: 0BAFAF31
	s_waitcnt lgkmcnt(0)                                       // 00000001E344: BF8CC07F
	s_barrier                                                  // 00000001E348: BF8A0000
	ds_read_b32 v64, v7 offset:16896                           // 00000001E34C: D86C4200 40000007
	ds_read_b32 v65, v7 offset:16960                           // 00000001E354: D86C4240 41000007
	ds_read_b32 v66, v7 offset:17024                           // 00000001E35C: D86C4280 42000007
	ds_read_b32 v67, v7 offset:17088                           // 00000001E364: D86C42C0 43000007
	ds_read_b32 v68, v7 offset:17152                           // 00000001E36C: D86C4300 44000007
	ds_read_b32 v69, v7 offset:17216                           // 00000001E374: D86C4340 45000007
	ds_read_b32 v70, v7 offset:17280                           // 00000001E37C: D86C4380 46000007
	ds_read_b32 v71, v7 offset:17344                           // 00000001E384: D86C43C0 47000007
	ds_read_b32 v72, v7 offset:17408                           // 00000001E38C: D86C4400 48000007
	ds_read_b32 v73, v7 offset:17472                           // 00000001E394: D86C4440 49000007
	ds_read_b32 v74, v7 offset:17536                           // 00000001E39C: D86C4480 4A000007
	ds_read_b32 v75, v7 offset:17600                           // 00000001E3A4: D86C44C0 4B000007
	ds_read_b32 v76, v7 offset:17664                           // 00000001E3AC: D86C4500 4C000007
	ds_read_b32 v77, v7 offset:17728                           // 00000001E3B4: D86C4540 4D000007
	ds_read_b32 v78, v7 offset:17792                           // 00000001E3BC: D86C4580 4E000007
	ds_read_b32 v79, v7 offset:17856                           // 00000001E3C4: D86C45C0 4F000007
	buffer_load_dwordx4 a[60:63], v29, s[16:19], 0 offen offset:1024// 00000001E3CC: E05C1400 80843C1D
	v_mul_f32_e32 v176, v44, v176                              // 00000001E3D4: 0B61612C
	v_mul_f32_e32 v177, v44, v177                              // 00000001E3D8: 0B63632C
	v_mul_f32_e32 v178, v44, v178                              // 00000001E3DC: 0B65652C
	v_mul_f32_e32 v179, v44, v179                              // 00000001E3E0: 0B67672C
	v_mul_f32_e32 v180, v44, v180                              // 00000001E3E4: 0B69692C
	v_mul_f32_e32 v181, v44, v181                              // 00000001E3E8: 0B6B6B2C
	v_mul_f32_e32 v182, v44, v182                              // 00000001E3EC: 0B6D6D2C
	v_mul_f32_e32 v183, v44, v183                              // 00000001E3F0: 0B6F6F2C
	s_waitcnt lgkmcnt(0)                                       // 00000001E3F4: BF8CC07F
	v_max3_f32 v48, v64, v65, v48                              // 00000001E3F8: D1D30030 04C28340
	v_max3_f32 v48, v66, v67, v48                              // 00000001E400: D1D30030 04C28742
	v_max3_f32 v48, v68, v69, v48                              // 00000001E408: D1D30030 04C28B44
	v_max3_f32 v48, v70, v71, v48                              // 00000001E410: D1D30030 04C28F46
	v_max3_f32 v48, v72, v73, v48                              // 00000001E418: D1D30030 04C29348
	v_max3_f32 v48, v74, v75, v48                              // 00000001E420: D1D30030 04C2974A
	v_max3_f32 v48, v76, v77, v48                              // 00000001E428: D1D30030 04C29B4C
	v_max3_f32 v48, v78, v79, v48                              // 00000001E430: D1D30030 04C29F4E
	buffer_load_dwordx4 a[96:99], v34, s[20:23], 0 offen       // 00000001E438: E05C1000 80856022
	v_mov_b32_e32 v64, 0xff800000                              // 00000001E440: 7E8002FF FF800000
	v_cmp_eq_u32_e64 s[40:41], v64, v11                        // 00000001E448: D0CA0028 00021740
	s_nop 1                                                    // 00000001E450: BF800001
	v_max_f32_e32 v15, v48, v11                                // 00000001E454: 161E1730
	v_mul_f32_e32 v53, s64, v15                                // 00000001E458: 0A6A1E40
	v_fma_f32 v112, v112, s64, -v53                            // 00000001E45C: D1CB0070 84D48170
	v_fma_f32 v113, v113, s64, -v53                            // 00000001E464: D1CB0071 84D48171
	v_fma_f32 v114, v114, s64, -v53                            // 00000001E46C: D1CB0072 84D48172
	v_fma_f32 v115, v115, s64, -v53                            // 00000001E474: D1CB0073 84D48173
	v_fma_f32 v116, v116, s64, -v53                            // 00000001E47C: D1CB0074 84D48174
	v_fma_f32 v117, v117, s64, -v53                            // 00000001E484: D1CB0075 84D48175
	v_fma_f32 v118, v118, s64, -v53                            // 00000001E48C: D1CB0076 84D48176
	v_fma_f32 v119, v119, s64, -v53                            // 00000001E494: D1CB0077 84D48177
	v_fma_f32 v120, v120, s64, -v53                            // 00000001E49C: D1CB0078 84D48178
	v_fma_f32 v121, v121, s64, -v53                            // 00000001E4A4: D1CB0079 84D48179
	v_fma_f32 v122, v122, s64, -v53                            // 00000001E4AC: D1CB007A 84D4817A
	v_fma_f32 v123, v123, s64, -v53                            // 00000001E4B4: D1CB007B 84D4817B
	v_fma_f32 v124, v124, s64, -v53                            // 00000001E4BC: D1CB007C 84D4817C
	v_fma_f32 v125, v125, s64, -v53                            // 00000001E4C4: D1CB007D 84D4817D
	v_fma_f32 v126, v126, s64, -v53                            // 00000001E4CC: D1CB007E 84D4817E
	v_fma_f32 v127, v127, s64, -v53                            // 00000001E4D4: D1CB007F 84D4817F
	buffer_load_dwordx4 a[100:103], v35, s[20:23], 0 offen     // 00000001E4DC: E05C1000 80856423
	v_exp_f32_e32 v112, v112                                   // 00000001E4E4: 7EE04170
	v_exp_f32_e32 v113, v113                                   // 00000001E4E8: 7EE24171
	v_exp_f32_e32 v114, v114                                   // 00000001E4EC: 7EE44172
	v_exp_f32_e32 v115, v115                                   // 00000001E4F0: 7EE64173
	v_exp_f32_e32 v116, v116                                   // 00000001E4F4: 7EE84174
	v_exp_f32_e32 v117, v117                                   // 00000001E4F8: 7EEA4175
	v_exp_f32_e32 v118, v118                                   // 00000001E4FC: 7EEC4176
	v_exp_f32_e32 v119, v119                                   // 00000001E500: 7EEE4177
	v_exp_f32_e32 v120, v120                                   // 00000001E504: 7EF04178
	v_exp_f32_e32 v121, v121                                   // 00000001E508: 7EF24179
	v_exp_f32_e32 v122, v122                                   // 00000001E50C: 7EF4417A
	v_exp_f32_e32 v123, v123                                   // 00000001E510: 7EF6417B
	v_exp_f32_e32 v124, v124                                   // 00000001E514: 7EF8417C
	v_exp_f32_e32 v125, v125                                   // 00000001E518: 7EFA417D
	v_exp_f32_e32 v126, v126                                   // 00000001E51C: 7EFC417E
	v_exp_f32_e32 v127, v127                                   // 00000001E520: 7EFE417F
	buffer_load_dwordx4 a[104:107], v36, s[20:23], 0 offen     // 00000001E524: E05C1000 80856824
	v_mul_f32_dpp v240, v252, v112 quad_perm:[0,0,0,0] row_mask:0xf bank_mask:0xf// 00000001E52C: 0BE0E0FA FF0000FC
	v_mul_f32_dpp v241, v252, v113 quad_perm:[1,1,1,1] row_mask:0xf bank_mask:0xf// 00000001E534: 0BE2E2FA FF0055FC
	v_mul_f32_dpp v242, v252, v114 quad_perm:[2,2,2,2] row_mask:0xf bank_mask:0xf// 00000001E53C: 0BE4E4FA FF00AAFC
	v_mul_f32_dpp v243, v252, v115 quad_perm:[3,3,3,3] row_mask:0xf bank_mask:0xf// 00000001E544: 0BE6E6FA FF00FFFC
	v_mul_f32_dpp v244, v253, v116 quad_perm:[0,0,0,0] row_mask:0xf bank_mask:0xf// 00000001E54C: 0BE8E8FA FF0000FD
	v_mul_f32_dpp v245, v253, v117 quad_perm:[1,1,1,1] row_mask:0xf bank_mask:0xf// 00000001E554: 0BEAEAFA FF0055FD
	v_mul_f32_dpp v246, v253, v118 quad_perm:[2,2,2,2] row_mask:0xf bank_mask:0xf// 00000001E55C: 0BECECFA FF00AAFD
	v_mul_f32_dpp v247, v253, v119 quad_perm:[3,3,3,3] row_mask:0xf bank_mask:0xf// 00000001E564: 0BEEEEFA FF00FFFD
	v_mul_f32_dpp v248, v254, v120 quad_perm:[0,0,0,0] row_mask:0xf bank_mask:0xf// 00000001E56C: 0BF0F0FA FF0000FE
	v_mul_f32_dpp v249, v254, v121 quad_perm:[1,1,1,1] row_mask:0xf bank_mask:0xf// 00000001E574: 0BF2F2FA FF0055FE
	v_mul_f32_dpp v250, v254, v122 quad_perm:[2,2,2,2] row_mask:0xf bank_mask:0xf// 00000001E57C: 0BF4F4FA FF00AAFE
	v_mul_f32_dpp v251, v254, v123 quad_perm:[3,3,3,3] row_mask:0xf bank_mask:0xf// 00000001E584: 0BF6F6FA FF00FFFE
	v_mul_f32_dpp v252, v255, v124 quad_perm:[0,0,0,0] row_mask:0xf bank_mask:0xf// 00000001E58C: 0BF8F8FA FF0000FF
	v_mul_f32_dpp v253, v255, v125 quad_perm:[1,1,1,1] row_mask:0xf bank_mask:0xf// 00000001E594: 0BFAFAFA FF0055FF
	v_mul_f32_dpp v254, v255, v126 quad_perm:[2,2,2,2] row_mask:0xf bank_mask:0xf// 00000001E59C: 0BFCFCFA FF00AAFF
	v_mul_f32_dpp v255, v255, v127 quad_perm:[3,3,3,3] row_mask:0xf bank_mask:0xf// 00000001E5A4: 0BFEFEFA FF00FFFF
	v_mov_b32_e32 v48, 0x358637bd                              // 00000001E5AC: 7E6002FF 358637BD
	v_max3_f32 v48, |v240|, |v241|, v48                        // 00000001E5B4: D1D30330 04C3E3F0
	v_max3_f32 v48, |v242|, |v243|, v48                        // 00000001E5BC: D1D30330 04C3E7F2
	v_max3_f32 v48, |v244|, |v245|, v48                        // 00000001E5C4: D1D30330 04C3EBF4
	v_max3_f32 v48, |v246|, |v247|, v48                        // 00000001E5CC: D1D30330 04C3EFF6
	v_max3_f32 v48, |v248|, |v249|, v48                        // 00000001E5D4: D1D30330 04C3F3F8
	v_max3_f32 v48, |v250|, |v251|, v48                        // 00000001E5DC: D1D30330 04C3F7FA
	v_max3_f32 v48, |v252|, |v253|, v48                        // 00000001E5E4: D1D30330 04C3FBFC
	v_max3_f32 v48, |v254|, |v255|, v48                        // 00000001E5EC: D1D30330 04C3FFFE
	buffer_load_dwordx4 a[108:111], v37, s[20:23], 0 offen     // 00000001E5F4: E05C1000 80856C25
	ds_write_b32 v8, v48 offset:20992                          // 00000001E5FC: D81A5200 00003008
	v_sub_f32_e32 v49, v11, v15                                // 00000001E604: 04621F0B
	v_cndmask_b32_e64 v49, v49, 0, s[40:41]                    // 00000001E608: D1000031 00A10131
	v_mov_b32_e32 v11, v15                                     // 00000001E610: 7E16030F
	v_mul_f32_e32 v49, s64, v49                                // 00000001E614: 0A626240
	v_exp_f32_e32 v49, v49                                     // 00000001E618: 7E624131
	s_waitcnt lgkmcnt(0)                                       // 00000001E61C: BF8CC07F
	s_barrier                                                  // 00000001E620: BF8A0000
	ds_read_b32 v64, v7 offset:20992                           // 00000001E624: D86C5200 40000007
	ds_read_b32 v65, v7 offset:21056                           // 00000001E62C: D86C5240 41000007
	ds_read_b32 v66, v7 offset:21120                           // 00000001E634: D86C5280 42000007
	ds_read_b32 v67, v7 offset:21184                           // 00000001E63C: D86C52C0 43000007
	ds_read_b32 v68, v7 offset:21248                           // 00000001E644: D86C5300 44000007
	ds_read_b32 v69, v7 offset:21312                           // 00000001E64C: D86C5340 45000007
	ds_read_b32 v70, v7 offset:21376                           // 00000001E654: D86C5380 46000007
	ds_read_b32 v71, v7 offset:21440                           // 00000001E65C: D86C53C0 47000007
	ds_read_b32 v72, v7 offset:21504                           // 00000001E664: D86C5400 48000007
	ds_read_b32 v73, v7 offset:21568                           // 00000001E66C: D86C5440 49000007
	ds_read_b32 v74, v7 offset:21632                           // 00000001E674: D86C5480 4A000007
	ds_read_b32 v75, v7 offset:21696                           // 00000001E67C: D86C54C0 4B000007
	ds_read_b32 v76, v7 offset:21760                           // 00000001E684: D86C5500 4C000007
	ds_read_b32 v77, v7 offset:21824                           // 00000001E68C: D86C5540 4D000007
	ds_read_b32 v78, v7 offset:21888                           // 00000001E694: D86C5580 4E000007
	ds_read_b32 v79, v7 offset:21952                           // 00000001E69C: D86C55C0 4F000007
	v_mul_f32_e32 v38, v49, v38                                // 00000001E6A4: 0A4C4D31
	v_mov_b32_e32 v15, v112                                    // 00000001E6A8: 7E1E0370
	v_add_f32_e32 v15, v113, v15                               // 00000001E6AC: 021E1F71
	v_add_f32_e32 v15, v114, v15                               // 00000001E6B0: 021E1F72
	v_add_f32_e32 v15, v115, v15                               // 00000001E6B4: 021E1F73
	v_add_f32_e32 v15, v116, v15                               // 00000001E6B8: 021E1F74
	v_add_f32_e32 v15, v117, v15                               // 00000001E6BC: 021E1F75
	v_add_f32_e32 v15, v118, v15                               // 00000001E6C0: 021E1F76
	v_add_f32_e32 v15, v119, v15                               // 00000001E6C4: 021E1F77
	v_add_f32_e32 v15, v120, v15                               // 00000001E6C8: 021E1F78
	v_add_f32_e32 v15, v121, v15                               // 00000001E6CC: 021E1F79
	v_add_f32_e32 v15, v122, v15                               // 00000001E6D0: 021E1F7A
	v_add_f32_e32 v15, v123, v15                               // 00000001E6D4: 021E1F7B
	v_add_f32_e32 v15, v124, v15                               // 00000001E6D8: 021E1F7C
	v_add_f32_e32 v15, v125, v15                               // 00000001E6DC: 021E1F7D
	v_add_f32_e32 v15, v126, v15                               // 00000001E6E0: 021E1F7E
	v_add_f32_e32 v15, v127, v15                               // 00000001E6E4: 021E1F7F
	v_add_f32_e32 v38, v15, v38                                // 00000001E6E8: 024C4D0F
	s_waitcnt lgkmcnt(0)                                       // 00000001E6EC: BF8CC07F
	v_max3_f32 v48, |v64|, |v65|, v48                          // 00000001E6F0: D1D30330 04C28340
	v_max3_f32 v48, |v66|, |v67|, v48                          // 00000001E6F8: D1D30330 04C28742
	v_max3_f32 v48, |v68|, |v69|, v48                          // 00000001E700: D1D30330 04C28B44
	v_max3_f32 v48, |v70|, |v71|, v48                          // 00000001E708: D1D30330 04C28F46
	v_max3_f32 v48, |v72|, |v73|, v48                          // 00000001E710: D1D30330 04C29348
	v_max3_f32 v48, |v74|, |v75|, v48                          // 00000001E718: D1D30330 04C2974A
	v_max3_f32 v48, |v76|, |v77|, v48                          // 00000001E720: D1D30330 04C29B4C
	v_max3_f32 v48, |v78|, |v79|, v48                          // 00000001E728: D1D30330 04C29F4E
	s_nop 2                                                    // 00000001E730: BF800002
	v_rcp_f32_e32 v48, v48                                     // 00000001E734: 7E604530
	s_nop 1                                                    // 00000001E738: BF800001
	v_mul_f32_e32 v48, 0x43700000, v48                         // 00000001E73C: 0A6060FF 43700000
	v_mul_f32_e32 v112, v48, v240                              // 00000001E744: 0AE1E130
	v_mul_f32_e32 v113, v48, v241                              // 00000001E748: 0AE3E330
	v_mul_f32_e32 v114, v48, v242                              // 00000001E74C: 0AE5E530
	v_mul_f32_e32 v115, v48, v243                              // 00000001E750: 0AE7E730
	v_mul_f32_e32 v116, v48, v244                              // 00000001E754: 0AE9E930
	v_mul_f32_e32 v117, v48, v245                              // 00000001E758: 0AEBEB30
	v_mul_f32_e32 v118, v48, v246                              // 00000001E75C: 0AEDED30
	v_mul_f32_e32 v119, v48, v247                              // 00000001E760: 0AEFEF30
	v_mul_f32_e32 v120, v48, v248                              // 00000001E764: 0AF1F130
	v_mul_f32_e32 v121, v48, v249                              // 00000001E768: 0AF3F330
	v_mul_f32_e32 v122, v48, v250                              // 00000001E76C: 0AF5F530
	v_mul_f32_e32 v123, v48, v251                              // 00000001E770: 0AF7F730
	v_mul_f32_e32 v124, v48, v252                              // 00000001E774: 0AF9F930
	v_mul_f32_e32 v125, v48, v253                              // 00000001E778: 0AFBFB30
	v_mul_f32_e32 v126, v48, v254                              // 00000001E77C: 0AFDFD30
	v_mul_f32_e32 v127, v48, v255                              // 00000001E780: 0AFFFF30
	v_cvt_pk_fp8_f32 v112, v112, v113                          // 00000001E784: D2A20070 0002E370
	v_cvt_pk_fp8_f32 v112, v114, v115 op_sel:[0,0,1]           // 00000001E78C: D2A24070 0002E772
	v_cvt_pk_fp8_f32 v113, v116, v117                          // 00000001E794: D2A20071 0002EB74
	v_cvt_pk_fp8_f32 v113, v118, v119 op_sel:[0,0,1]           // 00000001E79C: D2A24071 0002EF76
	v_cvt_pk_fp8_f32 v114, v120, v121                          // 00000001E7A4: D2A20072 0002F378
	v_cvt_pk_fp8_f32 v114, v122, v123 op_sel:[0,0,1]           // 00000001E7AC: D2A24072 0002F77A
	v_cvt_pk_fp8_f32 v115, v124, v125                          // 00000001E7B4: D2A20073 0002FB7C
	v_cvt_pk_fp8_f32 v115, v126, v127 op_sel:[0,0,1]           // 00000001E7BC: D2A24073 0002FF7E
	ds_write_b32 v10, v112 offset:25088                        // 00000001E7C4: D81A6200 0000700A
	ds_write_b32 v10, v113 offset:26112                        // 00000001E7CC: D81A6600 0000710A
	ds_write_b32 v10, v114 offset:27136                        // 00000001E7D4: D81A6A00 0000720A
	ds_write_b32 v10, v115 offset:28160                        // 00000001E7DC: D81A6E00 0000730A
	v_add_f32_e32 v208, v208, v176                             // 00000001E7E4: 03A161D0
	v_add_f32_e32 v209, v209, v177                             // 00000001E7E8: 03A363D1
	v_add_f32_e32 v210, v210, v178                             // 00000001E7EC: 03A565D2
	v_add_f32_e32 v211, v211, v179                             // 00000001E7F0: 03A767D3
	v_add_f32_e32 v212, v212, v180                             // 00000001E7F4: 03A969D4
	v_add_f32_e32 v213, v213, v181                             // 00000001E7F8: 03AB6BD5
	v_add_f32_e32 v214, v214, v182                             // 00000001E7FC: 03AD6DD6
	v_add_f32_e32 v215, v215, v183                             // 00000001E800: 03AF6FD7
	v_rcp_f32_e32 v44, v48                                     // 00000001E804: 7E584530
	s_waitcnt lgkmcnt(0)                                       // 00000001E808: BF8CC07F
	s_barrier                                                  // 00000001E80C: BF8A0000
	ds_read_b64 v[112:113], v9 offset:25088                    // 00000001E810: D8EC6200 70000009
	ds_read_b64 v[114:115], v9 offset:25216                    // 00000001E818: D8EC6280 72000009
	ds_read_b64 v[116:117], v9 offset:26112                    // 00000001E820: D8EC6600 74000009
	ds_read_b64 v[118:119], v9 offset:26240                    // 00000001E828: D8EC6680 76000009
	ds_read_b64 v[120:121], v9 offset:27136                    // 00000001E830: D8EC6A00 78000009
	ds_read_b64 v[122:123], v9 offset:27264                    // 00000001E838: D8EC6A80 7A000009
	ds_read_b64 v[124:125], v9 offset:28160                    // 00000001E840: D8EC6E00 7C000009
	ds_read_b64 v[126:127], v9 offset:28288                    // 00000001E848: D8EC6E80 7E000009
	v_mov_b32_dpp v64, v42 row_shr:4 row_mask:0xf bank_mask:0xf// 00000001E850: 7E8002FA FF01142A
	v_mov_b32_dpp v65, v42 row_shl:4 row_mask:0xf bank_mask:0xf// 00000001E858: 7E8202FA FF01042A
	v_cndmask_b32_e64 v248, v42, v64, s[44:45]                 // 00000001E860: D10000F8 00B2812A
	v_cndmask_b32_e64 v249, v65, v42, s[44:45]                 // 00000001E868: D10000F9 00B25541
	v_mov_b32_dpp v64, v248 row_shr:8 row_mask:0xf bank_mask:0xf// 00000001E870: 7E8002FA FF0118F8
	v_mov_b32_dpp v65, v248 row_shl:8 row_mask:0xf bank_mask:0xf// 00000001E878: 7E8202FA FF0108F8
	v_mov_b32_dpp v66, v249 row_shr:8 row_mask:0xf bank_mask:0xf// 00000001E880: 7E8402FA FF0118F9
	v_mov_b32_dpp v67, v249 row_shl:8 row_mask:0xf bank_mask:0xf// 00000001E888: 7E8602FA FF0108F9
	v_mov_b32_e32 v68, v248                                    // 00000001E890: 7E8803F8
	v_mov_b32_e32 v69, v249                                    // 00000001E894: 7E8A03F9
	v_cndmask_b32_e64 v248, v68, v64, s[42:43]                 // 00000001E898: D10000F8 00AA8144
	v_cndmask_b32_e64 v250, v68, v65, s[78:79]                 // 00000001E8A0: D10000FA 013A8344
	v_cndmask_b32_e64 v249, v69, v66, s[42:43]                 // 00000001E8A8: D10000F9 00AA8545
	v_cndmask_b32_e64 v251, v69, v67, s[78:79]                 // 00000001E8B0: D10000FB 013A8745
	v_mov_b32_dpp v64, v57 row_shr:4 row_mask:0xf bank_mask:0xf// 00000001E8B8: 7E8002FA FF011439
	v_mov_b32_dpp v65, v57 row_shl:4 row_mask:0xf bank_mask:0xf// 00000001E8C0: 7E8202FA FF010439
	v_cndmask_b32_e64 v252, v57, v64, s[44:45]                 // 00000001E8C8: D10000FC 00B28139
	v_cndmask_b32_e64 v253, v65, v57, s[44:45]                 // 00000001E8D0: D10000FD 00B27341
	v_mov_b32_dpp v64, v252 row_shr:8 row_mask:0xf bank_mask:0xf// 00000001E8D8: 7E8002FA FF0118FC
	v_mov_b32_dpp v65, v252 row_shl:8 row_mask:0xf bank_mask:0xf// 00000001E8E0: 7E8202FA FF0108FC
	v_mov_b32_dpp v66, v253 row_shr:8 row_mask:0xf bank_mask:0xf// 00000001E8E8: 7E8402FA FF0118FD
	v_mov_b32_dpp v67, v253 row_shl:8 row_mask:0xf bank_mask:0xf// 00000001E8F0: 7E8602FA FF0108FD
	v_mov_b32_e32 v68, v252                                    // 00000001E8F8: 7E8803FC
	v_mov_b32_e32 v69, v253                                    // 00000001E8FC: 7E8A03FD
	v_cndmask_b32_e64 v252, v68, v64, s[42:43]                 // 00000001E900: D10000FC 00AA8144
	v_cndmask_b32_e64 v254, v68, v65, s[78:79]                 // 00000001E908: D10000FE 013A8344
	v_cndmask_b32_e64 v253, v69, v66, s[42:43]                 // 00000001E910: D10000FD 00AA8545
	v_cndmask_b32_e64 v255, v69, v67, s[78:79]                 // 00000001E918: D10000FF 013A8745
	v_mul_f32_e32 v128, v19, v128                              // 00000001E920: 0B010113
	v_mul_f32_e32 v129, v19, v129                              // 00000001E924: 0B030313
	v_mul_f32_e32 v130, v19, v130                              // 00000001E928: 0B050513
	v_mul_f32_e32 v131, v19, v131                              // 00000001E92C: 0B070713
	v_mul_f32_e32 v132, v19, v132                              // 00000001E930: 0B090913
	v_mul_f32_e32 v133, v19, v133                              // 00000001E934: 0B0B0B13
	v_mul_f32_e32 v134, v19, v134                              // 00000001E938: 0B0D0D13
	v_mul_f32_e32 v135, v19, v135                              // 00000001E93C: 0B0F0F13
	v_mul_f32_e32 v136, v19, v136                              // 00000001E940: 0B111113
	v_mul_f32_e32 v137, v19, v137                              // 00000001E944: 0B131313
	v_mul_f32_e32 v138, v19, v138                              // 00000001E948: 0B151513
	v_mul_f32_e32 v139, v19, v139                              // 00000001E94C: 0B171713
	v_mul_f32_e32 v140, v19, v140                              // 00000001E950: 0B191913
	v_mul_f32_e32 v141, v19, v141                              // 00000001E954: 0B1B1B13
	v_mul_f32_e32 v142, v19, v142                              // 00000001E958: 0B1D1D13
	v_mul_f32_e32 v143, v19, v143                              // 00000001E95C: 0B1F1F13
	v_mul_f32_dpp v128, v248, v128 quad_perm:[0,0,0,0] row_mask:0xf bank_mask:0xf// 00000001E960: 0B0100FA FF0000F8
	v_mul_f32_dpp v129, v248, v129 quad_perm:[1,1,1,1] row_mask:0xf bank_mask:0xf// 00000001E968: 0B0302FA FF0055F8
	v_mul_f32_dpp v130, v248, v130 quad_perm:[2,2,2,2] row_mask:0xf bank_mask:0xf// 00000001E970: 0B0504FA FF00AAF8
	v_mul_f32_dpp v131, v248, v131 quad_perm:[3,3,3,3] row_mask:0xf bank_mask:0xf// 00000001E978: 0B0706FA FF00FFF8
	v_mul_f32_dpp v132, v249, v132 quad_perm:[0,0,0,0] row_mask:0xf bank_mask:0xf// 00000001E980: 0B0908FA FF0000F9
	v_mul_f32_dpp v133, v249, v133 quad_perm:[1,1,1,1] row_mask:0xf bank_mask:0xf// 00000001E988: 0B0B0AFA FF0055F9
	v_mul_f32_dpp v134, v249, v134 quad_perm:[2,2,2,2] row_mask:0xf bank_mask:0xf// 00000001E990: 0B0D0CFA FF00AAF9
	v_mul_f32_dpp v135, v249, v135 quad_perm:[3,3,3,3] row_mask:0xf bank_mask:0xf// 00000001E998: 0B0F0EFA FF00FFF9
	v_mul_f32_dpp v136, v250, v136 quad_perm:[0,0,0,0] row_mask:0xf bank_mask:0xf// 00000001E9A0: 0B1110FA FF0000FA
	v_mul_f32_dpp v137, v250, v137 quad_perm:[1,1,1,1] row_mask:0xf bank_mask:0xf// 00000001E9A8: 0B1312FA FF0055FA
	v_mul_f32_dpp v138, v250, v138 quad_perm:[2,2,2,2] row_mask:0xf bank_mask:0xf// 00000001E9B0: 0B1514FA FF00AAFA
	v_mul_f32_dpp v139, v250, v139 quad_perm:[3,3,3,3] row_mask:0xf bank_mask:0xf// 00000001E9B8: 0B1716FA FF00FFFA
	v_mul_f32_dpp v140, v251, v140 quad_perm:[0,0,0,0] row_mask:0xf bank_mask:0xf// 00000001E9C0: 0B1918FA FF0000FB
	v_mul_f32_dpp v141, v251, v141 quad_perm:[1,1,1,1] row_mask:0xf bank_mask:0xf// 00000001E9C8: 0B1B1AFA FF0055FB
	v_mul_f32_dpp v142, v251, v142 quad_perm:[2,2,2,2] row_mask:0xf bank_mask:0xf// 00000001E9D0: 0B1D1CFA FF00AAFB
	v_mul_f32_dpp v143, v251, v143 quad_perm:[3,3,3,3] row_mask:0xf bank_mask:0xf// 00000001E9D8: 0B1F1EFA FF00FFFB
	s_cmp_le_i32 s90, s89                                      // 00000001E9E0: BF05595A
	s_cbranch_scc1 label_726B                                  // 00000001E9E4: BF850071
	v_mov_b32_e32 v66, 0xff800000                              // 00000001E9E8: 7E8402FF FF800000
	s_mov_b32 s60, s90                                         // 00000001E9F0: BEBC005A
	s_add_u32 s61, s89, 0xff                                   // 00000001E9F4: 803DFF59 000000FF
	v_mov_b32_e32 v64, s61                                     // 00000001E9FC: 7E80023D
	v_lshrrev_b32_e32 v240, 4, v0                              // 00000001EA00: 21E00084
	v_mul_i32_i24_e32 v240, 4, v240                            // 00000001EA04: 0DE1E084
	v_add_u32_e32 v240, s60, v240                              // 00000001EA08: 69E1E03C
	s_mov_b32 s61, 1                                           // 00000001EA0C: BEBD0081
	s_mul_i32 s60, 16, s7                                      // 00000001EA10: 923C0790
	v_sub_u32_e64 v240, v240, s61                              // 00000001EA14: D13500F0 00007BF0
	v_add_u32_e32 v240, s60, v240                              // 00000001EA1C: 69E1E03C
	v_add_u32_e32 v241, 1, v240                                // 00000001EA20: 69E3E081
	v_add_u32_e32 v242, 2, v240                                // 00000001EA24: 69E5E082
	v_add_u32_e32 v243, 3, v240                                // 00000001EA28: 69E7E083
	v_cmp_le_u32_e64 s[40:41], v240, v64                       // 00000001EA2C: D0CB0028 000281F0
	v_add_u32_e32 v240, 64, v240                               // 00000001EA34: 69E1E0C0
	s_nop 0                                                    // 00000001EA38: BF800000
	v_cndmask_b32_e64 v128, v66, v128, s[40:41]                // 00000001EA3C: D1000080 00A30142
	v_cmp_le_u32_e64 s[40:41], v241, v64                       // 00000001EA44: D0CB0028 000281F1
	v_add_u32_e32 v241, 64, v241                               // 00000001EA4C: 69E3E2C0
	s_nop 0                                                    // 00000001EA50: BF800000
	v_cndmask_b32_e64 v129, v66, v129, s[40:41]                // 00000001EA54: D1000081 00A30342
	v_cmp_le_u32_e64 s[40:41], v242, v64                       // 00000001EA5C: D0CB0028 000281F2
	v_add_u32_e32 v242, 64, v242                               // 00000001EA64: 69E5E4C0
	s_nop 0                                                    // 00000001EA68: BF800000
	v_cndmask_b32_e64 v130, v66, v130, s[40:41]                // 00000001EA6C: D1000082 00A30542
	v_cmp_le_u32_e64 s[40:41], v243, v64                       // 00000001EA74: D0CB0028 000281F3
	v_add_u32_e32 v243, 64, v243                               // 00000001EA7C: 69E7E6C0
	s_nop 0                                                    // 00000001EA80: BF800000
	v_cndmask_b32_e64 v131, v66, v131, s[40:41]                // 00000001EA84: D1000083 00A30742
	v_cmp_le_u32_e64 s[40:41], v240, v64                       // 00000001EA8C: D0CB0028 000281F0
	v_add_u32_e32 v240, 64, v240                               // 00000001EA94: 69E1E0C0
	s_nop 0                                                    // 00000001EA98: BF800000
	v_cndmask_b32_e64 v132, v66, v132, s[40:41]                // 00000001EA9C: D1000084 00A30942
	v_cmp_le_u32_e64 s[40:41], v241, v64                       // 00000001EAA4: D0CB0028 000281F1
	v_add_u32_e32 v241, 64, v241                               // 00000001EAAC: 69E3E2C0
	s_nop 0                                                    // 00000001EAB0: BF800000
	v_cndmask_b32_e64 v133, v66, v133, s[40:41]                // 00000001EAB4: D1000085 00A30B42
	v_cmp_le_u32_e64 s[40:41], v242, v64                       // 00000001EABC: D0CB0028 000281F2
	v_add_u32_e32 v242, 64, v242                               // 00000001EAC4: 69E5E4C0
	s_nop 0                                                    // 00000001EAC8: BF800000
	v_cndmask_b32_e64 v134, v66, v134, s[40:41]                // 00000001EACC: D1000086 00A30D42
	v_cmp_le_u32_e64 s[40:41], v243, v64                       // 00000001EAD4: D0CB0028 000281F3
	v_add_u32_e32 v243, 64, v243                               // 00000001EADC: 69E7E6C0
	s_nop 0                                                    // 00000001EAE0: BF800000
	v_cndmask_b32_e64 v135, v66, v135, s[40:41]                // 00000001EAE4: D1000087 00A30F42
	v_cmp_le_u32_e64 s[40:41], v240, v64                       // 00000001EAEC: D0CB0028 000281F0
	v_add_u32_e32 v240, 64, v240                               // 00000001EAF4: 69E1E0C0
	s_nop 0                                                    // 00000001EAF8: BF800000
	v_cndmask_b32_e64 v136, v66, v136, s[40:41]                // 00000001EAFC: D1000088 00A31142
	v_cmp_le_u32_e64 s[40:41], v241, v64                       // 00000001EB04: D0CB0028 000281F1
	v_add_u32_e32 v241, 64, v241                               // 00000001EB0C: 69E3E2C0
	s_nop 0                                                    // 00000001EB10: BF800000
	v_cndmask_b32_e64 v137, v66, v137, s[40:41]                // 00000001EB14: D1000089 00A31342
	v_cmp_le_u32_e64 s[40:41], v242, v64                       // 00000001EB1C: D0CB0028 000281F2
	v_add_u32_e32 v242, 64, v242                               // 00000001EB24: 69E5E4C0
	s_nop 0                                                    // 00000001EB28: BF800000
	v_cndmask_b32_e64 v138, v66, v138, s[40:41]                // 00000001EB2C: D100008A 00A31542
	v_cmp_le_u32_e64 s[40:41], v243, v64                       // 00000001EB34: D0CB0028 000281F3
	v_add_u32_e32 v243, 64, v243                               // 00000001EB3C: 69E7E6C0
	s_nop 0                                                    // 00000001EB40: BF800000
	v_cndmask_b32_e64 v139, v66, v139, s[40:41]                // 00000001EB44: D100008B 00A31742
	v_cmp_le_u32_e64 s[40:41], v240, v64                       // 00000001EB4C: D0CB0028 000281F0
	v_add_u32_e32 v240, 64, v240                               // 00000001EB54: 69E1E0C0
	s_nop 0                                                    // 00000001EB58: BF800000
	v_cndmask_b32_e64 v140, v66, v140, s[40:41]                // 00000001EB5C: D100008C 00A31942
	v_cmp_le_u32_e64 s[40:41], v241, v64                       // 00000001EB64: D0CB0028 000281F1
	v_add_u32_e32 v241, 64, v241                               // 00000001EB6C: 69E3E2C0
	s_nop 0                                                    // 00000001EB70: BF800000
	v_cndmask_b32_e64 v141, v66, v141, s[40:41]                // 00000001EB74: D100008D 00A31B42
	v_cmp_le_u32_e64 s[40:41], v242, v64                       // 00000001EB7C: D0CB0028 000281F2
	v_add_u32_e32 v242, 64, v242                               // 00000001EB84: 69E5E4C0
	s_nop 0                                                    // 00000001EB88: BF800000
	v_cndmask_b32_e64 v142, v66, v142, s[40:41]                // 00000001EB8C: D100008E 00A31D42
	v_cmp_le_u32_e64 s[40:41], v243, v64                       // 00000001EB94: D0CB0028 000281F3
	v_add_u32_e32 v243, 64, v243                               // 00000001EB9C: 69E7E6C0
	s_nop 0                                                    // 00000001EBA0: BF800000
	v_cndmask_b32_e64 v143, v66, v143, s[40:41]                // 00000001EBA4: D100008F 00A31F42

000000000001ebac <label_726B>:
	v_mov_b32_e32 v48, v128                                    // 00000001EBAC: 7E600380
	v_max3_f32 v48, v128, v129, v48                            // 00000001EBB0: D1D30030 04C30380
	v_max3_f32 v48, v130, v131, v48                            // 00000001EBB8: D1D30030 04C30782
	v_max3_f32 v48, v132, v133, v48                            // 00000001EBC0: D1D30030 04C30B84
	v_max3_f32 v48, v134, v135, v48                            // 00000001EBC8: D1D30030 04C30F86
	v_max3_f32 v48, v136, v137, v48                            // 00000001EBD0: D1D30030 04C31388
	v_max3_f32 v48, v138, v139, v48                            // 00000001EBD8: D1D30030 04C3178A
	v_max3_f32 v48, v140, v141, v48                            // 00000001EBE0: D1D30030 04C31B8C
	v_max3_f32 v48, v142, v143, v48                            // 00000001EBE8: D1D30030 04C31F8E
	ds_write_b32 v8, v48 offset:16896                          // 00000001EBF0: D81A4200 00003008
	v_mul_f32_e32 v216, v50, v216                              // 00000001EBF8: 0BB1B132
	v_mul_f32_e32 v217, v50, v217                              // 00000001EBFC: 0BB3B332
	v_mul_f32_e32 v218, v50, v218                              // 00000001EC00: 0BB5B532
	v_mul_f32_e32 v219, v50, v219                              // 00000001EC04: 0BB7B732
	v_mul_f32_e32 v220, v50, v220                              // 00000001EC08: 0BB9B932
	v_mul_f32_e32 v221, v50, v221                              // 00000001EC0C: 0BBBBB32
	v_mul_f32_e32 v222, v50, v222                              // 00000001EC10: 0BBDBD32
	v_mul_f32_e32 v223, v50, v223                              // 00000001EC14: 0BBFBF32
	s_waitcnt lgkmcnt(0)                                       // 00000001EC18: BF8CC07F
	s_barrier                                                  // 00000001EC1C: BF8A0000
	ds_read_b32 v64, v7 offset:16896                           // 00000001EC20: D86C4200 40000007
	ds_read_b32 v65, v7 offset:16960                           // 00000001EC28: D86C4240 41000007
	ds_read_b32 v66, v7 offset:17024                           // 00000001EC30: D86C4280 42000007
	ds_read_b32 v67, v7 offset:17088                           // 00000001EC38: D86C42C0 43000007
	ds_read_b32 v68, v7 offset:17152                           // 00000001EC40: D86C4300 44000007
	ds_read_b32 v69, v7 offset:17216                           // 00000001EC48: D86C4340 45000007
	ds_read_b32 v70, v7 offset:17280                           // 00000001EC50: D86C4380 46000007
	ds_read_b32 v71, v7 offset:17344                           // 00000001EC58: D86C43C0 47000007
	ds_read_b32 v72, v7 offset:17408                           // 00000001EC60: D86C4400 48000007
	ds_read_b32 v73, v7 offset:17472                           // 00000001EC68: D86C4440 49000007
	ds_read_b32 v74, v7 offset:17536                           // 00000001EC70: D86C4480 4A000007
	ds_read_b32 v75, v7 offset:17600                           // 00000001EC78: D86C44C0 4B000007
	ds_read_b32 v76, v7 offset:17664                           // 00000001EC80: D86C4500 4C000007
	ds_read_b32 v77, v7 offset:17728                           // 00000001EC88: D86C4540 4D000007
	ds_read_b32 v78, v7 offset:17792                           // 00000001EC90: D86C4580 4E000007
	ds_read_b32 v79, v7 offset:17856                           // 00000001EC98: D86C45C0 4F000007
	v_mul_f32_e32 v184, v45, v184                              // 00000001ECA0: 0B71712D
	v_mul_f32_e32 v185, v45, v185                              // 00000001ECA4: 0B73732D
	v_mul_f32_e32 v186, v45, v186                              // 00000001ECA8: 0B75752D
	v_mul_f32_e32 v187, v45, v187                              // 00000001ECAC: 0B77772D
	v_mul_f32_e32 v188, v45, v188                              // 00000001ECB0: 0B79792D
	v_mul_f32_e32 v189, v45, v189                              // 00000001ECB4: 0B7B7B2D
	v_mul_f32_e32 v190, v45, v190                              // 00000001ECB8: 0B7D7D2D
	v_mul_f32_e32 v191, v45, v191                              // 00000001ECBC: 0B7F7F2D
	s_waitcnt lgkmcnt(0)                                       // 00000001ECC0: BF8CC07F
	v_max3_f32 v48, v64, v65, v48                              // 00000001ECC4: D1D30030 04C28340
	v_max3_f32 v48, v66, v67, v48                              // 00000001ECCC: D1D30030 04C28742
	v_max3_f32 v48, v68, v69, v48                              // 00000001ECD4: D1D30030 04C28B44
	v_max3_f32 v48, v70, v71, v48                              // 00000001ECDC: D1D30030 04C28F46
	v_max3_f32 v48, v72, v73, v48                              // 00000001ECE4: D1D30030 04C29348
	v_max3_f32 v48, v74, v75, v48                              // 00000001ECEC: D1D30030 04C2974A
	v_max3_f32 v48, v76, v77, v48                              // 00000001ECF4: D1D30030 04C29B4C
	v_max3_f32 v48, v78, v79, v48                              // 00000001ECFC: D1D30030 04C29F4E
	v_mov_b32_e32 v64, 0xff800000                              // 00000001ED04: 7E8002FF FF800000
	v_cmp_eq_u32_e64 s[40:41], v64, v12                        // 00000001ED0C: D0CA0028 00021940
	s_nop 1                                                    // 00000001ED14: BF800001
	v_max_f32_e32 v15, v48, v12                                // 00000001ED18: 161E1930
	v_mul_f32_e32 v53, s64, v15                                // 00000001ED1C: 0A6A1E40
	v_fma_f32 v128, v128, s64, -v53                            // 00000001ED20: D1CB0080 84D48180
	v_fma_f32 v129, v129, s64, -v53                            // 00000001ED28: D1CB0081 84D48181
	v_fma_f32 v130, v130, s64, -v53                            // 00000001ED30: D1CB0082 84D48182
	v_fma_f32 v131, v131, s64, -v53                            // 00000001ED38: D1CB0083 84D48183
	v_fma_f32 v132, v132, s64, -v53                            // 00000001ED40: D1CB0084 84D48184
	v_fma_f32 v133, v133, s64, -v53                            // 00000001ED48: D1CB0085 84D48185
	v_fma_f32 v134, v134, s64, -v53                            // 00000001ED50: D1CB0086 84D48186
	v_fma_f32 v135, v135, s64, -v53                            // 00000001ED58: D1CB0087 84D48187
	v_fma_f32 v136, v136, s64, -v53                            // 00000001ED60: D1CB0088 84D48188
	v_fma_f32 v137, v137, s64, -v53                            // 00000001ED68: D1CB0089 84D48189
	v_fma_f32 v138, v138, s64, -v53                            // 00000001ED70: D1CB008A 84D4818A
	v_fma_f32 v139, v139, s64, -v53                            // 00000001ED78: D1CB008B 84D4818B
	v_fma_f32 v140, v140, s64, -v53                            // 00000001ED80: D1CB008C 84D4818C
	v_fma_f32 v141, v141, s64, -v53                            // 00000001ED88: D1CB008D 84D4818D
	v_fma_f32 v142, v142, s64, -v53                            // 00000001ED90: D1CB008E 84D4818E
	v_fma_f32 v143, v143, s64, -v53                            // 00000001ED98: D1CB008F 84D4818F
	v_exp_f32_e32 v128, v128                                   // 00000001EDA0: 7F004180
	v_exp_f32_e32 v129, v129                                   // 00000001EDA4: 7F024181
	v_exp_f32_e32 v130, v130                                   // 00000001EDA8: 7F044182
	v_exp_f32_e32 v131, v131                                   // 00000001EDAC: 7F064183
	v_exp_f32_e32 v132, v132                                   // 00000001EDB0: 7F084184
	v_exp_f32_e32 v133, v133                                   // 00000001EDB4: 7F0A4185
	v_exp_f32_e32 v134, v134                                   // 00000001EDB8: 7F0C4186
	v_exp_f32_e32 v135, v135                                   // 00000001EDBC: 7F0E4187
	v_exp_f32_e32 v136, v136                                   // 00000001EDC0: 7F104188
	v_exp_f32_e32 v137, v137                                   // 00000001EDC4: 7F124189
	v_exp_f32_e32 v138, v138                                   // 00000001EDC8: 7F14418A
	v_exp_f32_e32 v139, v139                                   // 00000001EDCC: 7F16418B
	v_exp_f32_e32 v140, v140                                   // 00000001EDD0: 7F18418C
	v_exp_f32_e32 v141, v141                                   // 00000001EDD4: 7F1A418D
	v_exp_f32_e32 v142, v142                                   // 00000001EDD8: 7F1C418E
	v_exp_f32_e32 v143, v143                                   // 00000001EDDC: 7F1E418F
	v_mul_f32_dpp v240, v252, v128 quad_perm:[0,0,0,0] row_mask:0xf bank_mask:0xf// 00000001EDE0: 0BE100FA FF0000FC
	v_mul_f32_dpp v241, v252, v129 quad_perm:[1,1,1,1] row_mask:0xf bank_mask:0xf// 00000001EDE8: 0BE302FA FF0055FC
	v_mul_f32_dpp v242, v252, v130 quad_perm:[2,2,2,2] row_mask:0xf bank_mask:0xf// 00000001EDF0: 0BE504FA FF00AAFC
	v_mul_f32_dpp v243, v252, v131 quad_perm:[3,3,3,3] row_mask:0xf bank_mask:0xf// 00000001EDF8: 0BE706FA FF00FFFC
	v_mul_f32_dpp v244, v253, v132 quad_perm:[0,0,0,0] row_mask:0xf bank_mask:0xf// 00000001EE00: 0BE908FA FF0000FD
	v_mul_f32_dpp v245, v253, v133 quad_perm:[1,1,1,1] row_mask:0xf bank_mask:0xf// 00000001EE08: 0BEB0AFA FF0055FD
	v_mul_f32_dpp v246, v253, v134 quad_perm:[2,2,2,2] row_mask:0xf bank_mask:0xf// 00000001EE10: 0BED0CFA FF00AAFD
	v_mul_f32_dpp v247, v253, v135 quad_perm:[3,3,3,3] row_mask:0xf bank_mask:0xf// 00000001EE18: 0BEF0EFA FF00FFFD
	v_mul_f32_dpp v248, v254, v136 quad_perm:[0,0,0,0] row_mask:0xf bank_mask:0xf// 00000001EE20: 0BF110FA FF0000FE
	v_mul_f32_dpp v249, v254, v137 quad_perm:[1,1,1,1] row_mask:0xf bank_mask:0xf// 00000001EE28: 0BF312FA FF0055FE
	v_mul_f32_dpp v250, v254, v138 quad_perm:[2,2,2,2] row_mask:0xf bank_mask:0xf// 00000001EE30: 0BF514FA FF00AAFE
	v_mul_f32_dpp v251, v254, v139 quad_perm:[3,3,3,3] row_mask:0xf bank_mask:0xf// 00000001EE38: 0BF716FA FF00FFFE
	v_mul_f32_dpp v252, v255, v140 quad_perm:[0,0,0,0] row_mask:0xf bank_mask:0xf// 00000001EE40: 0BF918FA FF0000FF
	v_mul_f32_dpp v253, v255, v141 quad_perm:[1,1,1,1] row_mask:0xf bank_mask:0xf// 00000001EE48: 0BFB1AFA FF0055FF
	v_mul_f32_dpp v254, v255, v142 quad_perm:[2,2,2,2] row_mask:0xf bank_mask:0xf// 00000001EE50: 0BFD1CFA FF00AAFF
	v_mul_f32_dpp v255, v255, v143 quad_perm:[3,3,3,3] row_mask:0xf bank_mask:0xf// 00000001EE58: 0BFF1EFA FF00FFFF
	v_mov_b32_e32 v48, 0x358637bd                              // 00000001EE60: 7E6002FF 358637BD
	v_max3_f32 v48, |v240|, |v241|, v48                        // 00000001EE68: D1D30330 04C3E3F0
	v_max3_f32 v48, |v242|, |v243|, v48                        // 00000001EE70: D1D30330 04C3E7F2
	v_max3_f32 v48, |v244|, |v245|, v48                        // 00000001EE78: D1D30330 04C3EBF4
	v_max3_f32 v48, |v246|, |v247|, v48                        // 00000001EE80: D1D30330 04C3EFF6
	v_max3_f32 v48, |v248|, |v249|, v48                        // 00000001EE88: D1D30330 04C3F3F8
	v_max3_f32 v48, |v250|, |v251|, v48                        // 00000001EE90: D1D30330 04C3F7FA
	v_max3_f32 v48, |v252|, |v253|, v48                        // 00000001EE98: D1D30330 04C3FBFC
	v_max3_f32 v48, |v254|, |v255|, v48                        // 00000001EEA0: D1D30330 04C3FFFE
	ds_write_b32 v8, v48 offset:20992                          // 00000001EEA8: D81A5200 00003008
	v_sub_f32_e32 v50, v12, v15                                // 00000001EEB0: 04641F0C
	v_cndmask_b32_e64 v50, v50, 0, s[40:41]                    // 00000001EEB4: D1000032 00A10132
	v_mov_b32_e32 v12, v15                                     // 00000001EEBC: 7E18030F
	v_mul_f32_e32 v50, s64, v50                                // 00000001EEC0: 0A646440
	v_exp_f32_e32 v50, v50                                     // 00000001EEC4: 7E644132
	s_waitcnt lgkmcnt(0)                                       // 00000001EEC8: BF8CC07F
	s_barrier                                                  // 00000001EECC: BF8A0000
	ds_read_b32 v64, v7 offset:20992                           // 00000001EED0: D86C5200 40000007
	ds_read_b32 v65, v7 offset:21056                           // 00000001EED8: D86C5240 41000007
	ds_read_b32 v66, v7 offset:21120                           // 00000001EEE0: D86C5280 42000007
	ds_read_b32 v67, v7 offset:21184                           // 00000001EEE8: D86C52C0 43000007
	ds_read_b32 v68, v7 offset:21248                           // 00000001EEF0: D86C5300 44000007
	ds_read_b32 v69, v7 offset:21312                           // 00000001EEF8: D86C5340 45000007
	ds_read_b32 v70, v7 offset:21376                           // 00000001EF00: D86C5380 46000007
	ds_read_b32 v71, v7 offset:21440                           // 00000001EF08: D86C53C0 47000007
	ds_read_b32 v72, v7 offset:21504                           // 00000001EF10: D86C5400 48000007
	ds_read_b32 v73, v7 offset:21568                           // 00000001EF18: D86C5440 49000007
	ds_read_b32 v74, v7 offset:21632                           // 00000001EF20: D86C5480 4A000007
	ds_read_b32 v75, v7 offset:21696                           // 00000001EF28: D86C54C0 4B000007
	ds_read_b32 v76, v7 offset:21760                           // 00000001EF30: D86C5500 4C000007
	ds_read_b32 v77, v7 offset:21824                           // 00000001EF38: D86C5540 4D000007
	ds_read_b32 v78, v7 offset:21888                           // 00000001EF40: D86C5580 4E000007
	ds_read_b32 v79, v7 offset:21952                           // 00000001EF48: D86C55C0 4F000007
	v_mul_f32_e32 v39, v50, v39                                // 00000001EF50: 0A4E4F32
	v_mov_b32_e32 v15, v128                                    // 00000001EF54: 7E1E0380
	v_add_f32_e32 v15, v129, v15                               // 00000001EF58: 021E1F81
	v_add_f32_e32 v15, v130, v15                               // 00000001EF5C: 021E1F82
	v_add_f32_e32 v15, v131, v15                               // 00000001EF60: 021E1F83
	v_add_f32_e32 v15, v132, v15                               // 00000001EF64: 021E1F84
	v_add_f32_e32 v15, v133, v15                               // 00000001EF68: 021E1F85
	v_add_f32_e32 v15, v134, v15                               // 00000001EF6C: 021E1F86
	v_add_f32_e32 v15, v135, v15                               // 00000001EF70: 021E1F87
	v_add_f32_e32 v15, v136, v15                               // 00000001EF74: 021E1F88
	v_add_f32_e32 v15, v137, v15                               // 00000001EF78: 021E1F89
	v_add_f32_e32 v15, v138, v15                               // 00000001EF7C: 021E1F8A
	v_add_f32_e32 v15, v139, v15                               // 00000001EF80: 021E1F8B
	v_add_f32_e32 v15, v140, v15                               // 00000001EF84: 021E1F8C
	v_add_f32_e32 v15, v141, v15                               // 00000001EF88: 021E1F8D
	v_add_f32_e32 v15, v142, v15                               // 00000001EF8C: 021E1F8E
	v_add_f32_e32 v15, v143, v15                               // 00000001EF90: 021E1F8F
	v_add_f32_e32 v39, v15, v39                                // 00000001EF94: 024E4F0F
	s_waitcnt lgkmcnt(0)                                       // 00000001EF98: BF8CC07F
	v_max3_f32 v48, |v64|, |v65|, v48                          // 00000001EF9C: D1D30330 04C28340
	v_max3_f32 v48, |v66|, |v67|, v48                          // 00000001EFA4: D1D30330 04C28742
	v_max3_f32 v48, |v68|, |v69|, v48                          // 00000001EFAC: D1D30330 04C28B44
	v_max3_f32 v48, |v70|, |v71|, v48                          // 00000001EFB4: D1D30330 04C28F46
	v_max3_f32 v48, |v72|, |v73|, v48                          // 00000001EFBC: D1D30330 04C29348
	v_max3_f32 v48, |v74|, |v75|, v48                          // 00000001EFC4: D1D30330 04C2974A
	v_max3_f32 v48, |v76|, |v77|, v48                          // 00000001EFCC: D1D30330 04C29B4C
	v_max3_f32 v48, |v78|, |v79|, v48                          // 00000001EFD4: D1D30330 04C29F4E
	s_nop 2                                                    // 00000001EFDC: BF800002
	v_rcp_f32_e32 v48, v48                                     // 00000001EFE0: 7E604530
	s_nop 1                                                    // 00000001EFE4: BF800001
	v_mul_f32_e32 v48, 0x43700000, v48                         // 00000001EFE8: 0A6060FF 43700000
	v_mul_f32_e32 v128, v48, v240                              // 00000001EFF0: 0B01E130
	v_mul_f32_e32 v129, v48, v241                              // 00000001EFF4: 0B03E330
	v_mul_f32_e32 v130, v48, v242                              // 00000001EFF8: 0B05E530
	v_mul_f32_e32 v131, v48, v243                              // 00000001EFFC: 0B07E730
	v_mul_f32_e32 v132, v48, v244                              // 00000001F000: 0B09E930
	v_mul_f32_e32 v133, v48, v245                              // 00000001F004: 0B0BEB30
	v_mul_f32_e32 v134, v48, v246                              // 00000001F008: 0B0DED30
	v_mul_f32_e32 v135, v48, v247                              // 00000001F00C: 0B0FEF30
	v_mul_f32_e32 v136, v48, v248                              // 00000001F010: 0B11F130
	v_mul_f32_e32 v137, v48, v249                              // 00000001F014: 0B13F330
	v_mul_f32_e32 v138, v48, v250                              // 00000001F018: 0B15F530
	v_mul_f32_e32 v139, v48, v251                              // 00000001F01C: 0B17F730
	v_mul_f32_e32 v140, v48, v252                              // 00000001F020: 0B19F930
	v_mul_f32_e32 v141, v48, v253                              // 00000001F024: 0B1BFB30
	v_mul_f32_e32 v142, v48, v254                              // 00000001F028: 0B1DFD30
	v_mul_f32_e32 v143, v48, v255                              // 00000001F02C: 0B1FFF30
	v_cvt_pk_fp8_f32 v128, v128, v129                          // 00000001F030: D2A20080 00030380
	v_cvt_pk_fp8_f32 v128, v130, v131 op_sel:[0,0,1]           // 00000001F038: D2A24080 00030782
	v_cvt_pk_fp8_f32 v129, v132, v133                          // 00000001F040: D2A20081 00030B84
	v_cvt_pk_fp8_f32 v129, v134, v135 op_sel:[0,0,1]           // 00000001F048: D2A24081 00030F86
	v_cvt_pk_fp8_f32 v130, v136, v137                          // 00000001F050: D2A20082 00031388
	v_cvt_pk_fp8_f32 v130, v138, v139 op_sel:[0,0,1]           // 00000001F058: D2A24082 0003178A
	v_cvt_pk_fp8_f32 v131, v140, v141                          // 00000001F060: D2A20083 00031B8C
	v_cvt_pk_fp8_f32 v131, v142, v143 op_sel:[0,0,1]           // 00000001F068: D2A24083 00031F8E
	ds_write_b32 v10, v128 offset:29184                        // 00000001F070: D81A7200 0000800A
	ds_write_b32 v10, v129 offset:30208                        // 00000001F078: D81A7600 0000810A
	ds_write_b32 v10, v130 offset:31232                        // 00000001F080: D81A7A00 0000820A
	ds_write_b32 v10, v131 offset:32256                        // 00000001F088: D81A7E00 0000830A
	v_add_f32_e32 v216, v216, v184                             // 00000001F090: 03B171D8
	v_add_f32_e32 v217, v217, v185                             // 00000001F094: 03B373D9
	v_add_f32_e32 v218, v218, v186                             // 00000001F098: 03B575DA
	v_add_f32_e32 v219, v219, v187                             // 00000001F09C: 03B777DB
	v_add_f32_e32 v220, v220, v188                             // 00000001F0A0: 03B979DC
	v_add_f32_e32 v221, v221, v189                             // 00000001F0A4: 03BB7BDD
	v_add_f32_e32 v222, v222, v190                             // 00000001F0A8: 03BD7DDE
	v_add_f32_e32 v223, v223, v191                             // 00000001F0AC: 03BF7FDF
	v_rcp_f32_e32 v45, v48                                     // 00000001F0B0: 7E5A4530
	s_waitcnt lgkmcnt(0)                                       // 00000001F0B4: BF8CC07F
	s_barrier                                                  // 00000001F0B8: BF8A0000
	ds_read_b64 v[128:129], v9 offset:29184                    // 00000001F0BC: D8EC7200 80000009
	ds_read_b64 v[130:131], v9 offset:29312                    // 00000001F0C4: D8EC7280 82000009
	ds_read_b64 v[132:133], v9 offset:30208                    // 00000001F0CC: D8EC7600 84000009
	ds_read_b64 v[134:135], v9 offset:30336                    // 00000001F0D4: D8EC7680 86000009
	ds_read_b64 v[136:137], v9 offset:31232                    // 00000001F0DC: D8EC7A00 88000009
	ds_read_b64 v[138:139], v9 offset:31360                    // 00000001F0E4: D8EC7A80 8A000009
	ds_read_b64 v[140:141], v9 offset:32256                    // 00000001F0EC: D8EC7E00 8C000009
	ds_read_b64 v[142:143], v9 offset:32384                    // 00000001F0F4: D8EC7E80 8E000009
	v_mov_b32_dpp v64, v42 row_shr:4 row_mask:0xf bank_mask:0xf// 00000001F0FC: 7E8002FA FF01142A
	v_mov_b32_dpp v65, v42 row_shl:4 row_mask:0xf bank_mask:0xf// 00000001F104: 7E8202FA FF01042A
	v_cndmask_b32_e64 v248, v42, v64, s[44:45]                 // 00000001F10C: D10000F8 00B2812A
	v_cndmask_b32_e64 v249, v65, v42, s[44:45]                 // 00000001F114: D10000F9 00B25541
	v_mov_b32_dpp v64, v248 row_shr:8 row_mask:0xf bank_mask:0xf// 00000001F11C: 7E8002FA FF0118F8
	v_mov_b32_dpp v65, v248 row_shl:8 row_mask:0xf bank_mask:0xf// 00000001F124: 7E8202FA FF0108F8
	v_mov_b32_dpp v66, v249 row_shr:8 row_mask:0xf bank_mask:0xf// 00000001F12C: 7E8402FA FF0118F9
	v_mov_b32_dpp v67, v249 row_shl:8 row_mask:0xf bank_mask:0xf// 00000001F134: 7E8602FA FF0108F9
	v_mov_b32_e32 v68, v248                                    // 00000001F13C: 7E8803F8
	v_mov_b32_e32 v69, v249                                    // 00000001F140: 7E8A03F9
	v_cndmask_b32_e64 v248, v68, v64, s[42:43]                 // 00000001F144: D10000F8 00AA8144
	v_cndmask_b32_e64 v250, v68, v65, s[78:79]                 // 00000001F14C: D10000FA 013A8344
	v_cndmask_b32_e64 v249, v69, v66, s[42:43]                 // 00000001F154: D10000F9 00AA8545
	v_cndmask_b32_e64 v251, v69, v67, s[78:79]                 // 00000001F15C: D10000FB 013A8745
	v_mov_b32_dpp v64, v57 row_shr:4 row_mask:0xf bank_mask:0xf// 00000001F164: 7E8002FA FF011439
	v_mov_b32_dpp v65, v57 row_shl:4 row_mask:0xf bank_mask:0xf// 00000001F16C: 7E8202FA FF010439
	v_cndmask_b32_e64 v252, v57, v64, s[44:45]                 // 00000001F174: D10000FC 00B28139
	v_cndmask_b32_e64 v253, v65, v57, s[44:45]                 // 00000001F17C: D10000FD 00B27341
	v_mov_b32_dpp v64, v252 row_shr:8 row_mask:0xf bank_mask:0xf// 00000001F184: 7E8002FA FF0118FC
	v_mov_b32_dpp v65, v252 row_shl:8 row_mask:0xf bank_mask:0xf// 00000001F18C: 7E8202FA FF0108FC
	v_mov_b32_dpp v66, v253 row_shr:8 row_mask:0xf bank_mask:0xf// 00000001F194: 7E8402FA FF0118FD
	v_mov_b32_dpp v67, v253 row_shl:8 row_mask:0xf bank_mask:0xf// 00000001F19C: 7E8602FA FF0108FD
	v_mov_b32_e32 v68, v252                                    // 00000001F1A4: 7E8803FC
	v_mov_b32_e32 v69, v253                                    // 00000001F1A8: 7E8A03FD
	v_cndmask_b32_e64 v252, v68, v64, s[42:43]                 // 00000001F1AC: D10000FC 00AA8144
	v_cndmask_b32_e64 v254, v68, v65, s[78:79]                 // 00000001F1B4: D10000FE 013A8344
	v_cndmask_b32_e64 v253, v69, v66, s[42:43]                 // 00000001F1BC: D10000FD 00AA8545
	v_cndmask_b32_e64 v255, v69, v67, s[78:79]                 // 00000001F1C4: D10000FF 013A8745
	v_mul_f32_e32 v144, v20, v144                              // 00000001F1CC: 0B212114
	v_mul_f32_e32 v145, v20, v145                              // 00000001F1D0: 0B232314
	v_mul_f32_e32 v146, v20, v146                              // 00000001F1D4: 0B252514
	v_mul_f32_e32 v147, v20, v147                              // 00000001F1D8: 0B272714
	v_mul_f32_e32 v148, v20, v148                              // 00000001F1DC: 0B292914
	v_mul_f32_e32 v149, v20, v149                              // 00000001F1E0: 0B2B2B14
	v_mul_f32_e32 v150, v20, v150                              // 00000001F1E4: 0B2D2D14
	v_mul_f32_e32 v151, v20, v151                              // 00000001F1E8: 0B2F2F14
	v_mul_f32_e32 v152, v20, v152                              // 00000001F1EC: 0B313114
	v_mul_f32_e32 v153, v20, v153                              // 00000001F1F0: 0B333314
	v_mul_f32_e32 v154, v20, v154                              // 00000001F1F4: 0B353514
	v_mul_f32_e32 v155, v20, v155                              // 00000001F1F8: 0B373714
	v_mul_f32_e32 v156, v20, v156                              // 00000001F1FC: 0B393914
	v_mul_f32_e32 v157, v20, v157                              // 00000001F200: 0B3B3B14
	v_mul_f32_e32 v158, v20, v158                              // 00000001F204: 0B3D3D14
	v_mul_f32_e32 v159, v20, v159                              // 00000001F208: 0B3F3F14
	v_mul_f32_dpp v144, v248, v144 quad_perm:[0,0,0,0] row_mask:0xf bank_mask:0xf// 00000001F20C: 0B2120FA FF0000F8
	v_mul_f32_dpp v145, v248, v145 quad_perm:[1,1,1,1] row_mask:0xf bank_mask:0xf// 00000001F214: 0B2322FA FF0055F8
	v_mul_f32_dpp v146, v248, v146 quad_perm:[2,2,2,2] row_mask:0xf bank_mask:0xf// 00000001F21C: 0B2524FA FF00AAF8
	v_mul_f32_dpp v147, v248, v147 quad_perm:[3,3,3,3] row_mask:0xf bank_mask:0xf// 00000001F224: 0B2726FA FF00FFF8
	v_mul_f32_dpp v148, v249, v148 quad_perm:[0,0,0,0] row_mask:0xf bank_mask:0xf// 00000001F22C: 0B2928FA FF0000F9
	v_mul_f32_dpp v149, v249, v149 quad_perm:[1,1,1,1] row_mask:0xf bank_mask:0xf// 00000001F234: 0B2B2AFA FF0055F9
	v_mul_f32_dpp v150, v249, v150 quad_perm:[2,2,2,2] row_mask:0xf bank_mask:0xf// 00000001F23C: 0B2D2CFA FF00AAF9
	v_mul_f32_dpp v151, v249, v151 quad_perm:[3,3,3,3] row_mask:0xf bank_mask:0xf// 00000001F244: 0B2F2EFA FF00FFF9
	v_mul_f32_dpp v152, v250, v152 quad_perm:[0,0,0,0] row_mask:0xf bank_mask:0xf// 00000001F24C: 0B3130FA FF0000FA
	v_mul_f32_dpp v153, v250, v153 quad_perm:[1,1,1,1] row_mask:0xf bank_mask:0xf// 00000001F254: 0B3332FA FF0055FA
	v_mul_f32_dpp v154, v250, v154 quad_perm:[2,2,2,2] row_mask:0xf bank_mask:0xf// 00000001F25C: 0B3534FA FF00AAFA
	v_mul_f32_dpp v155, v250, v155 quad_perm:[3,3,3,3] row_mask:0xf bank_mask:0xf// 00000001F264: 0B3736FA FF00FFFA
	v_mul_f32_dpp v156, v251, v156 quad_perm:[0,0,0,0] row_mask:0xf bank_mask:0xf// 00000001F26C: 0B3938FA FF0000FB
	v_mul_f32_dpp v157, v251, v157 quad_perm:[1,1,1,1] row_mask:0xf bank_mask:0xf// 00000001F274: 0B3B3AFA FF0055FB
	v_mul_f32_dpp v158, v251, v158 quad_perm:[2,2,2,2] row_mask:0xf bank_mask:0xf// 00000001F27C: 0B3D3CFA FF00AAFB
	v_mul_f32_dpp v159, v251, v159 quad_perm:[3,3,3,3] row_mask:0xf bank_mask:0xf// 00000001F284: 0B3F3EFA FF00FFFB
	s_cmp_le_i32 s90, s89                                      // 00000001F28C: BF05595A
	s_cbranch_scc1 label_7496                                  // 00000001F290: BF850071
	v_mov_b32_e32 v66, 0xff800000                              // 00000001F294: 7E8402FF FF800000
	s_mov_b32 s60, s90                                         // 00000001F29C: BEBC005A
	s_add_u32 s61, s89, 0xff                                   // 00000001F2A0: 803DFF59 000000FF
	v_mov_b32_e32 v64, s61                                     // 00000001F2A8: 7E80023D
	v_lshrrev_b32_e32 v240, 4, v0                              // 00000001F2AC: 21E00084
	v_mul_i32_i24_e32 v240, 4, v240                            // 00000001F2B0: 0DE1E084
	v_add_u32_e32 v240, s60, v240                              // 00000001F2B4: 69E1E03C
	s_mov_b32 s61, 2                                           // 00000001F2B8: BEBD0082
	s_mul_i32 s60, 16, s7                                      // 00000001F2BC: 923C0790
	v_sub_u32_e64 v240, v240, s61                              // 00000001F2C0: D13500F0 00007BF0
	v_add_u32_e32 v240, s60, v240                              // 00000001F2C8: 69E1E03C
	v_add_u32_e32 v241, 1, v240                                // 00000001F2CC: 69E3E081
	v_add_u32_e32 v242, 2, v240                                // 00000001F2D0: 69E5E082
	v_add_u32_e32 v243, 3, v240                                // 00000001F2D4: 69E7E083
	v_cmp_le_u32_e64 s[40:41], v240, v64                       // 00000001F2D8: D0CB0028 000281F0
	v_add_u32_e32 v240, 64, v240                               // 00000001F2E0: 69E1E0C0
	s_nop 0                                                    // 00000001F2E4: BF800000
	v_cndmask_b32_e64 v144, v66, v144, s[40:41]                // 00000001F2E8: D1000090 00A32142
	v_cmp_le_u32_e64 s[40:41], v241, v64                       // 00000001F2F0: D0CB0028 000281F1
	v_add_u32_e32 v241, 64, v241                               // 00000001F2F8: 69E3E2C0
	s_nop 0                                                    // 00000001F2FC: BF800000
	v_cndmask_b32_e64 v145, v66, v145, s[40:41]                // 00000001F300: D1000091 00A32342
	v_cmp_le_u32_e64 s[40:41], v242, v64                       // 00000001F308: D0CB0028 000281F2
	v_add_u32_e32 v242, 64, v242                               // 00000001F310: 69E5E4C0
	s_nop 0                                                    // 00000001F314: BF800000
	v_cndmask_b32_e64 v146, v66, v146, s[40:41]                // 00000001F318: D1000092 00A32542
	v_cmp_le_u32_e64 s[40:41], v243, v64                       // 00000001F320: D0CB0028 000281F3
	v_add_u32_e32 v243, 64, v243                               // 00000001F328: 69E7E6C0
	s_nop 0                                                    // 00000001F32C: BF800000
	v_cndmask_b32_e64 v147, v66, v147, s[40:41]                // 00000001F330: D1000093 00A32742
	v_cmp_le_u32_e64 s[40:41], v240, v64                       // 00000001F338: D0CB0028 000281F0
	v_add_u32_e32 v240, 64, v240                               // 00000001F340: 69E1E0C0
	s_nop 0                                                    // 00000001F344: BF800000
	v_cndmask_b32_e64 v148, v66, v148, s[40:41]                // 00000001F348: D1000094 00A32942
	v_cmp_le_u32_e64 s[40:41], v241, v64                       // 00000001F350: D0CB0028 000281F1
	v_add_u32_e32 v241, 64, v241                               // 00000001F358: 69E3E2C0
	s_nop 0                                                    // 00000001F35C: BF800000
	v_cndmask_b32_e64 v149, v66, v149, s[40:41]                // 00000001F360: D1000095 00A32B42
	v_cmp_le_u32_e64 s[40:41], v242, v64                       // 00000001F368: D0CB0028 000281F2
	v_add_u32_e32 v242, 64, v242                               // 00000001F370: 69E5E4C0
	s_nop 0                                                    // 00000001F374: BF800000
	v_cndmask_b32_e64 v150, v66, v150, s[40:41]                // 00000001F378: D1000096 00A32D42
	v_cmp_le_u32_e64 s[40:41], v243, v64                       // 00000001F380: D0CB0028 000281F3
	v_add_u32_e32 v243, 64, v243                               // 00000001F388: 69E7E6C0
	s_nop 0                                                    // 00000001F38C: BF800000
	v_cndmask_b32_e64 v151, v66, v151, s[40:41]                // 00000001F390: D1000097 00A32F42
	v_cmp_le_u32_e64 s[40:41], v240, v64                       // 00000001F398: D0CB0028 000281F0
	v_add_u32_e32 v240, 64, v240                               // 00000001F3A0: 69E1E0C0
	s_nop 0                                                    // 00000001F3A4: BF800000
	v_cndmask_b32_e64 v152, v66, v152, s[40:41]                // 00000001F3A8: D1000098 00A33142
	v_cmp_le_u32_e64 s[40:41], v241, v64                       // 00000001F3B0: D0CB0028 000281F1
	v_add_u32_e32 v241, 64, v241                               // 00000001F3B8: 69E3E2C0
	s_nop 0                                                    // 00000001F3BC: BF800000
	v_cndmask_b32_e64 v153, v66, v153, s[40:41]                // 00000001F3C0: D1000099 00A33342
	v_cmp_le_u32_e64 s[40:41], v242, v64                       // 00000001F3C8: D0CB0028 000281F2
	v_add_u32_e32 v242, 64, v242                               // 00000001F3D0: 69E5E4C0
	s_nop 0                                                    // 00000001F3D4: BF800000
	v_cndmask_b32_e64 v154, v66, v154, s[40:41]                // 00000001F3D8: D100009A 00A33542
	v_cmp_le_u32_e64 s[40:41], v243, v64                       // 00000001F3E0: D0CB0028 000281F3
	v_add_u32_e32 v243, 64, v243                               // 00000001F3E8: 69E7E6C0
	s_nop 0                                                    // 00000001F3EC: BF800000
	v_cndmask_b32_e64 v155, v66, v155, s[40:41]                // 00000001F3F0: D100009B 00A33742
	v_cmp_le_u32_e64 s[40:41], v240, v64                       // 00000001F3F8: D0CB0028 000281F0
	v_add_u32_e32 v240, 64, v240                               // 00000001F400: 69E1E0C0
	s_nop 0                                                    // 00000001F404: BF800000
	v_cndmask_b32_e64 v156, v66, v156, s[40:41]                // 00000001F408: D100009C 00A33942
	v_cmp_le_u32_e64 s[40:41], v241, v64                       // 00000001F410: D0CB0028 000281F1
	v_add_u32_e32 v241, 64, v241                               // 00000001F418: 69E3E2C0
	s_nop 0                                                    // 00000001F41C: BF800000
	v_cndmask_b32_e64 v157, v66, v157, s[40:41]                // 00000001F420: D100009D 00A33B42
	v_cmp_le_u32_e64 s[40:41], v242, v64                       // 00000001F428: D0CB0028 000281F2
	v_add_u32_e32 v242, 64, v242                               // 00000001F430: 69E5E4C0
	s_nop 0                                                    // 00000001F434: BF800000
	v_cndmask_b32_e64 v158, v66, v158, s[40:41]                // 00000001F438: D100009E 00A33D42
	v_cmp_le_u32_e64 s[40:41], v243, v64                       // 00000001F440: D0CB0028 000281F3
	v_add_u32_e32 v243, 64, v243                               // 00000001F448: 69E7E6C0
	s_nop 0                                                    // 00000001F44C: BF800000
	v_cndmask_b32_e64 v159, v66, v159, s[40:41]                // 00000001F450: D100009F 00A33F42

000000000001f458 <label_7496>:
	v_mov_b32_e32 v48, v144                                    // 00000001F458: 7E600390
	v_max3_f32 v48, v144, v145, v48                            // 00000001F45C: D1D30030 04C32390
	v_max3_f32 v48, v146, v147, v48                            // 00000001F464: D1D30030 04C32792
	v_max3_f32 v48, v148, v149, v48                            // 00000001F46C: D1D30030 04C32B94
	v_max3_f32 v48, v150, v151, v48                            // 00000001F474: D1D30030 04C32F96
	v_max3_f32 v48, v152, v153, v48                            // 00000001F47C: D1D30030 04C33398
	v_max3_f32 v48, v154, v155, v48                            // 00000001F484: D1D30030 04C3379A
	v_max3_f32 v48, v156, v157, v48                            // 00000001F48C: D1D30030 04C33B9C
	v_max3_f32 v48, v158, v159, v48                            // 00000001F494: D1D30030 04C33F9E
	ds_write_b32 v8, v48 offset:16896                          // 00000001F49C: D81A4200 00003008
	v_mul_f32_e32 v224, v51, v224                              // 00000001F4A4: 0BC1C133
	v_mul_f32_e32 v225, v51, v225                              // 00000001F4A8: 0BC3C333
	v_mul_f32_e32 v226, v51, v226                              // 00000001F4AC: 0BC5C533
	v_mul_f32_e32 v227, v51, v227                              // 00000001F4B0: 0BC7C733
	v_mul_f32_e32 v228, v51, v228                              // 00000001F4B4: 0BC9C933
	v_mul_f32_e32 v229, v51, v229                              // 00000001F4B8: 0BCBCB33
	v_mul_f32_e32 v230, v51, v230                              // 00000001F4BC: 0BCDCD33
	v_mul_f32_e32 v231, v51, v231                              // 00000001F4C0: 0BCFCF33
	s_waitcnt lgkmcnt(0)                                       // 00000001F4C4: BF8CC07F
	s_barrier                                                  // 00000001F4C8: BF8A0000
	ds_read_b32 v64, v7 offset:16896                           // 00000001F4CC: D86C4200 40000007
	ds_read_b32 v65, v7 offset:16960                           // 00000001F4D4: D86C4240 41000007
	ds_read_b32 v66, v7 offset:17024                           // 00000001F4DC: D86C4280 42000007
	ds_read_b32 v67, v7 offset:17088                           // 00000001F4E4: D86C42C0 43000007
	ds_read_b32 v68, v7 offset:17152                           // 00000001F4EC: D86C4300 44000007
	ds_read_b32 v69, v7 offset:17216                           // 00000001F4F4: D86C4340 45000007
	ds_read_b32 v70, v7 offset:17280                           // 00000001F4FC: D86C4380 46000007
	ds_read_b32 v71, v7 offset:17344                           // 00000001F504: D86C43C0 47000007
	ds_read_b32 v72, v7 offset:17408                           // 00000001F50C: D86C4400 48000007
	ds_read_b32 v73, v7 offset:17472                           // 00000001F514: D86C4440 49000007
	ds_read_b32 v74, v7 offset:17536                           // 00000001F51C: D86C4480 4A000007
	ds_read_b32 v75, v7 offset:17600                           // 00000001F524: D86C44C0 4B000007
	ds_read_b32 v76, v7 offset:17664                           // 00000001F52C: D86C4500 4C000007
	ds_read_b32 v77, v7 offset:17728                           // 00000001F534: D86C4540 4D000007
	ds_read_b32 v78, v7 offset:17792                           // 00000001F53C: D86C4580 4E000007
	ds_read_b32 v79, v7 offset:17856                           // 00000001F544: D86C45C0 4F000007
	v_mul_f32_e32 v192, v46, v192                              // 00000001F54C: 0B81812E
	v_mul_f32_e32 v193, v46, v193                              // 00000001F550: 0B83832E
	v_mul_f32_e32 v194, v46, v194                              // 00000001F554: 0B85852E
	v_mul_f32_e32 v195, v46, v195                              // 00000001F558: 0B87872E
	v_mul_f32_e32 v196, v46, v196                              // 00000001F55C: 0B89892E
	v_mul_f32_e32 v197, v46, v197                              // 00000001F560: 0B8B8B2E
	v_mul_f32_e32 v198, v46, v198                              // 00000001F564: 0B8D8D2E
	v_mul_f32_e32 v199, v46, v199                              // 00000001F568: 0B8F8F2E
	s_waitcnt lgkmcnt(0)                                       // 00000001F56C: BF8CC07F
	v_max3_f32 v48, v64, v65, v48                              // 00000001F570: D1D30030 04C28340
	v_max3_f32 v48, v66, v67, v48                              // 00000001F578: D1D30030 04C28742
	v_max3_f32 v48, v68, v69, v48                              // 00000001F580: D1D30030 04C28B44
	v_max3_f32 v48, v70, v71, v48                              // 00000001F588: D1D30030 04C28F46
	v_max3_f32 v48, v72, v73, v48                              // 00000001F590: D1D30030 04C29348
	v_max3_f32 v48, v74, v75, v48                              // 00000001F598: D1D30030 04C2974A
	v_max3_f32 v48, v76, v77, v48                              // 00000001F5A0: D1D30030 04C29B4C
	v_max3_f32 v48, v78, v79, v48                              // 00000001F5A8: D1D30030 04C29F4E
	v_mov_b32_e32 v64, 0xff800000                              // 00000001F5B0: 7E8002FF FF800000
	v_cmp_eq_u32_e64 s[40:41], v64, v13                        // 00000001F5B8: D0CA0028 00021B40
	s_nop 1                                                    // 00000001F5C0: BF800001
	v_max_f32_e32 v15, v48, v13                                // 00000001F5C4: 161E1B30
	v_mul_f32_e32 v53, s64, v15                                // 00000001F5C8: 0A6A1E40
	v_fma_f32 v144, v144, s64, -v53                            // 00000001F5CC: D1CB0090 84D48190
	v_fma_f32 v145, v145, s64, -v53                            // 00000001F5D4: D1CB0091 84D48191
	v_fma_f32 v146, v146, s64, -v53                            // 00000001F5DC: D1CB0092 84D48192
	v_fma_f32 v147, v147, s64, -v53                            // 00000001F5E4: D1CB0093 84D48193
	v_fma_f32 v148, v148, s64, -v53                            // 00000001F5EC: D1CB0094 84D48194
	v_fma_f32 v149, v149, s64, -v53                            // 00000001F5F4: D1CB0095 84D48195
	v_fma_f32 v150, v150, s64, -v53                            // 00000001F5FC: D1CB0096 84D48196
	v_fma_f32 v151, v151, s64, -v53                            // 00000001F604: D1CB0097 84D48197
	v_fma_f32 v152, v152, s64, -v53                            // 00000001F60C: D1CB0098 84D48198
	v_fma_f32 v153, v153, s64, -v53                            // 00000001F614: D1CB0099 84D48199
	v_fma_f32 v154, v154, s64, -v53                            // 00000001F61C: D1CB009A 84D4819A
	v_fma_f32 v155, v155, s64, -v53                            // 00000001F624: D1CB009B 84D4819B
	v_fma_f32 v156, v156, s64, -v53                            // 00000001F62C: D1CB009C 84D4819C
	v_fma_f32 v157, v157, s64, -v53                            // 00000001F634: D1CB009D 84D4819D
	v_fma_f32 v158, v158, s64, -v53                            // 00000001F63C: D1CB009E 84D4819E
	v_fma_f32 v159, v159, s64, -v53                            // 00000001F644: D1CB009F 84D4819F
	v_exp_f32_e32 v144, v144                                   // 00000001F64C: 7F204190
	v_exp_f32_e32 v145, v145                                   // 00000001F650: 7F224191
	v_exp_f32_e32 v146, v146                                   // 00000001F654: 7F244192
	v_exp_f32_e32 v147, v147                                   // 00000001F658: 7F264193
	v_exp_f32_e32 v148, v148                                   // 00000001F65C: 7F284194
	v_exp_f32_e32 v149, v149                                   // 00000001F660: 7F2A4195
	v_exp_f32_e32 v150, v150                                   // 00000001F664: 7F2C4196
	v_exp_f32_e32 v151, v151                                   // 00000001F668: 7F2E4197
	v_exp_f32_e32 v152, v152                                   // 00000001F66C: 7F304198
	v_exp_f32_e32 v153, v153                                   // 00000001F670: 7F324199
	v_exp_f32_e32 v154, v154                                   // 00000001F674: 7F34419A
	v_exp_f32_e32 v155, v155                                   // 00000001F678: 7F36419B
	v_exp_f32_e32 v156, v156                                   // 00000001F67C: 7F38419C
	v_exp_f32_e32 v157, v157                                   // 00000001F680: 7F3A419D
	v_exp_f32_e32 v158, v158                                   // 00000001F684: 7F3C419E
	v_exp_f32_e32 v159, v159                                   // 00000001F688: 7F3E419F
	v_mul_f32_dpp v240, v252, v144 quad_perm:[0,0,0,0] row_mask:0xf bank_mask:0xf// 00000001F68C: 0BE120FA FF0000FC
	v_mul_f32_dpp v241, v252, v145 quad_perm:[1,1,1,1] row_mask:0xf bank_mask:0xf// 00000001F694: 0BE322FA FF0055FC
	v_mul_f32_dpp v242, v252, v146 quad_perm:[2,2,2,2] row_mask:0xf bank_mask:0xf// 00000001F69C: 0BE524FA FF00AAFC
	v_mul_f32_dpp v243, v252, v147 quad_perm:[3,3,3,3] row_mask:0xf bank_mask:0xf// 00000001F6A4: 0BE726FA FF00FFFC
	v_mul_f32_dpp v244, v253, v148 quad_perm:[0,0,0,0] row_mask:0xf bank_mask:0xf// 00000001F6AC: 0BE928FA FF0000FD
	v_mul_f32_dpp v245, v253, v149 quad_perm:[1,1,1,1] row_mask:0xf bank_mask:0xf// 00000001F6B4: 0BEB2AFA FF0055FD
	v_mul_f32_dpp v246, v253, v150 quad_perm:[2,2,2,2] row_mask:0xf bank_mask:0xf// 00000001F6BC: 0BED2CFA FF00AAFD
	v_mul_f32_dpp v247, v253, v151 quad_perm:[3,3,3,3] row_mask:0xf bank_mask:0xf// 00000001F6C4: 0BEF2EFA FF00FFFD
	v_mul_f32_dpp v248, v254, v152 quad_perm:[0,0,0,0] row_mask:0xf bank_mask:0xf// 00000001F6CC: 0BF130FA FF0000FE
	v_mul_f32_dpp v249, v254, v153 quad_perm:[1,1,1,1] row_mask:0xf bank_mask:0xf// 00000001F6D4: 0BF332FA FF0055FE
	v_mul_f32_dpp v250, v254, v154 quad_perm:[2,2,2,2] row_mask:0xf bank_mask:0xf// 00000001F6DC: 0BF534FA FF00AAFE
	v_mul_f32_dpp v251, v254, v155 quad_perm:[3,3,3,3] row_mask:0xf bank_mask:0xf// 00000001F6E4: 0BF736FA FF00FFFE
	v_mul_f32_dpp v252, v255, v156 quad_perm:[0,0,0,0] row_mask:0xf bank_mask:0xf// 00000001F6EC: 0BF938FA FF0000FF
	v_mul_f32_dpp v253, v255, v157 quad_perm:[1,1,1,1] row_mask:0xf bank_mask:0xf// 00000001F6F4: 0BFB3AFA FF0055FF
	v_mul_f32_dpp v254, v255, v158 quad_perm:[2,2,2,2] row_mask:0xf bank_mask:0xf// 00000001F6FC: 0BFD3CFA FF00AAFF
	v_mul_f32_dpp v255, v255, v159 quad_perm:[3,3,3,3] row_mask:0xf bank_mask:0xf// 00000001F704: 0BFF3EFA FF00FFFF
	v_mov_b32_e32 v48, 0x358637bd                              // 00000001F70C: 7E6002FF 358637BD
	v_max3_f32 v48, |v240|, |v241|, v48                        // 00000001F714: D1D30330 04C3E3F0
	v_max3_f32 v48, |v242|, |v243|, v48                        // 00000001F71C: D1D30330 04C3E7F2
	v_max3_f32 v48, |v244|, |v245|, v48                        // 00000001F724: D1D30330 04C3EBF4
	v_max3_f32 v48, |v246|, |v247|, v48                        // 00000001F72C: D1D30330 04C3EFF6
	v_max3_f32 v48, |v248|, |v249|, v48                        // 00000001F734: D1D30330 04C3F3F8
	v_max3_f32 v48, |v250|, |v251|, v48                        // 00000001F73C: D1D30330 04C3F7FA
	v_max3_f32 v48, |v252|, |v253|, v48                        // 00000001F744: D1D30330 04C3FBFC
	v_max3_f32 v48, |v254|, |v255|, v48                        // 00000001F74C: D1D30330 04C3FFFE
	ds_write_b32 v8, v48 offset:20992                          // 00000001F754: D81A5200 00003008
	v_sub_f32_e32 v51, v13, v15                                // 00000001F75C: 04661F0D
	v_cndmask_b32_e64 v51, v51, 0, s[40:41]                    // 00000001F760: D1000033 00A10133
	v_mov_b32_e32 v13, v15                                     // 00000001F768: 7E1A030F
	v_mul_f32_e32 v51, s64, v51                                // 00000001F76C: 0A666640
	v_exp_f32_e32 v51, v51                                     // 00000001F770: 7E664133
	s_waitcnt lgkmcnt(0)                                       // 00000001F774: BF8CC07F
	s_barrier                                                  // 00000001F778: BF8A0000
	ds_read_b32 v64, v7 offset:20992                           // 00000001F77C: D86C5200 40000007
	ds_read_b32 v65, v7 offset:21056                           // 00000001F784: D86C5240 41000007
	ds_read_b32 v66, v7 offset:21120                           // 00000001F78C: D86C5280 42000007
	ds_read_b32 v67, v7 offset:21184                           // 00000001F794: D86C52C0 43000007
	ds_read_b32 v68, v7 offset:21248                           // 00000001F79C: D86C5300 44000007
	ds_read_b32 v69, v7 offset:21312                           // 00000001F7A4: D86C5340 45000007
	ds_read_b32 v70, v7 offset:21376                           // 00000001F7AC: D86C5380 46000007
	ds_read_b32 v71, v7 offset:21440                           // 00000001F7B4: D86C53C0 47000007
	ds_read_b32 v72, v7 offset:21504                           // 00000001F7BC: D86C5400 48000007
	ds_read_b32 v73, v7 offset:21568                           // 00000001F7C4: D86C5440 49000007
	ds_read_b32 v74, v7 offset:21632                           // 00000001F7CC: D86C5480 4A000007
	ds_read_b32 v75, v7 offset:21696                           // 00000001F7D4: D86C54C0 4B000007
	ds_read_b32 v76, v7 offset:21760                           // 00000001F7DC: D86C5500 4C000007
	ds_read_b32 v77, v7 offset:21824                           // 00000001F7E4: D86C5540 4D000007
	ds_read_b32 v78, v7 offset:21888                           // 00000001F7EC: D86C5580 4E000007
	ds_read_b32 v79, v7 offset:21952                           // 00000001F7F4: D86C55C0 4F000007
	v_mul_f32_e32 v40, v51, v40                                // 00000001F7FC: 0A505133
	v_mov_b32_e32 v15, v144                                    // 00000001F800: 7E1E0390
	v_add_f32_e32 v15, v145, v15                               // 00000001F804: 021E1F91
	v_add_f32_e32 v15, v146, v15                               // 00000001F808: 021E1F92
	v_add_f32_e32 v15, v147, v15                               // 00000001F80C: 021E1F93
	v_add_f32_e32 v15, v148, v15                               // 00000001F810: 021E1F94
	v_add_f32_e32 v15, v149, v15                               // 00000001F814: 021E1F95
	v_add_f32_e32 v15, v150, v15                               // 00000001F818: 021E1F96
	v_add_f32_e32 v15, v151, v15                               // 00000001F81C: 021E1F97
	v_add_f32_e32 v15, v152, v15                               // 00000001F820: 021E1F98
	v_add_f32_e32 v15, v153, v15                               // 00000001F824: 021E1F99
	v_add_f32_e32 v15, v154, v15                               // 00000001F828: 021E1F9A
	v_add_f32_e32 v15, v155, v15                               // 00000001F82C: 021E1F9B
	v_add_f32_e32 v15, v156, v15                               // 00000001F830: 021E1F9C
	v_add_f32_e32 v15, v157, v15                               // 00000001F834: 021E1F9D
	v_add_f32_e32 v15, v158, v15                               // 00000001F838: 021E1F9E
	v_add_f32_e32 v15, v159, v15                               // 00000001F83C: 021E1F9F
	v_add_f32_e32 v40, v15, v40                                // 00000001F840: 0250510F
	s_waitcnt lgkmcnt(0)                                       // 00000001F844: BF8CC07F
	v_max3_f32 v48, |v64|, |v65|, v48                          // 00000001F848: D1D30330 04C28340
	v_max3_f32 v48, |v66|, |v67|, v48                          // 00000001F850: D1D30330 04C28742
	v_max3_f32 v48, |v68|, |v69|, v48                          // 00000001F858: D1D30330 04C28B44
	v_max3_f32 v48, |v70|, |v71|, v48                          // 00000001F860: D1D30330 04C28F46
	v_max3_f32 v48, |v72|, |v73|, v48                          // 00000001F868: D1D30330 04C29348
	v_max3_f32 v48, |v74|, |v75|, v48                          // 00000001F870: D1D30330 04C2974A
	v_max3_f32 v48, |v76|, |v77|, v48                          // 00000001F878: D1D30330 04C29B4C
	v_max3_f32 v48, |v78|, |v79|, v48                          // 00000001F880: D1D30330 04C29F4E
	s_nop 2                                                    // 00000001F888: BF800002
	v_rcp_f32_e32 v48, v48                                     // 00000001F88C: 7E604530
	s_nop 1                                                    // 00000001F890: BF800001
	v_mul_f32_e32 v48, 0x43700000, v48                         // 00000001F894: 0A6060FF 43700000
	v_mul_f32_e32 v144, v48, v240                              // 00000001F89C: 0B21E130
	v_mul_f32_e32 v145, v48, v241                              // 00000001F8A0: 0B23E330
	v_mul_f32_e32 v146, v48, v242                              // 00000001F8A4: 0B25E530
	v_mul_f32_e32 v147, v48, v243                              // 00000001F8A8: 0B27E730
	v_mul_f32_e32 v148, v48, v244                              // 00000001F8AC: 0B29E930
	v_mul_f32_e32 v149, v48, v245                              // 00000001F8B0: 0B2BEB30
	v_mul_f32_e32 v150, v48, v246                              // 00000001F8B4: 0B2DED30
	v_mul_f32_e32 v151, v48, v247                              // 00000001F8B8: 0B2FEF30
	v_mul_f32_e32 v152, v48, v248                              // 00000001F8BC: 0B31F130
	v_mul_f32_e32 v153, v48, v249                              // 00000001F8C0: 0B33F330
	v_mul_f32_e32 v154, v48, v250                              // 00000001F8C4: 0B35F530
	v_mul_f32_e32 v155, v48, v251                              // 00000001F8C8: 0B37F730
	v_mul_f32_e32 v156, v48, v252                              // 00000001F8CC: 0B39F930
	v_mul_f32_e32 v157, v48, v253                              // 00000001F8D0: 0B3BFB30
	v_mul_f32_e32 v158, v48, v254                              // 00000001F8D4: 0B3DFD30
	v_mul_f32_e32 v159, v48, v255                              // 00000001F8D8: 0B3FFF30
	v_cvt_pk_fp8_f32 v144, v144, v145                          // 00000001F8DC: D2A20090 00032390
	v_cvt_pk_fp8_f32 v144, v146, v147 op_sel:[0,0,1]           // 00000001F8E4: D2A24090 00032792
	v_cvt_pk_fp8_f32 v145, v148, v149                          // 00000001F8EC: D2A20091 00032B94
	v_cvt_pk_fp8_f32 v145, v150, v151 op_sel:[0,0,1]           // 00000001F8F4: D2A24091 00032F96
	v_cvt_pk_fp8_f32 v146, v152, v153                          // 00000001F8FC: D2A20092 00033398
	v_cvt_pk_fp8_f32 v146, v154, v155 op_sel:[0,0,1]           // 00000001F904: D2A24092 0003379A
	v_cvt_pk_fp8_f32 v147, v156, v157                          // 00000001F90C: D2A20093 00033B9C
	v_cvt_pk_fp8_f32 v147, v158, v159 op_sel:[0,0,1]           // 00000001F914: D2A24093 00033F9E
	ds_write_b32 v10, v144 offset:33280                        // 00000001F91C: D81A8200 0000900A
	ds_write_b32 v10, v145 offset:34304                        // 00000001F924: D81A8600 0000910A
	ds_write_b32 v10, v146 offset:35328                        // 00000001F92C: D81A8A00 0000920A
	ds_write_b32 v10, v147 offset:36352                        // 00000001F934: D81A8E00 0000930A
	v_add_f32_e32 v224, v224, v192                             // 00000001F93C: 03C181E0
	v_add_f32_e32 v225, v225, v193                             // 00000001F940: 03C383E1
	v_add_f32_e32 v226, v226, v194                             // 00000001F944: 03C585E2
	v_add_f32_e32 v227, v227, v195                             // 00000001F948: 03C787E3
	v_add_f32_e32 v228, v228, v196                             // 00000001F94C: 03C989E4
	v_add_f32_e32 v229, v229, v197                             // 00000001F950: 03CB8BE5
	v_add_f32_e32 v230, v230, v198                             // 00000001F954: 03CD8DE6
	v_add_f32_e32 v231, v231, v199                             // 00000001F958: 03CF8FE7
	v_rcp_f32_e32 v46, v48                                     // 00000001F95C: 7E5C4530
	s_waitcnt lgkmcnt(0)                                       // 00000001F960: BF8CC07F
	s_barrier                                                  // 00000001F964: BF8A0000
	ds_read_b64 v[144:145], v9 offset:33280                    // 00000001F968: D8EC8200 90000009
	ds_read_b64 v[146:147], v9 offset:33408                    // 00000001F970: D8EC8280 92000009
	ds_read_b64 v[148:149], v9 offset:34304                    // 00000001F978: D8EC8600 94000009
	ds_read_b64 v[150:151], v9 offset:34432                    // 00000001F980: D8EC8680 96000009
	ds_read_b64 v[152:153], v9 offset:35328                    // 00000001F988: D8EC8A00 98000009
	ds_read_b64 v[154:155], v9 offset:35456                    // 00000001F990: D8EC8A80 9A000009
	ds_read_b64 v[156:157], v9 offset:36352                    // 00000001F998: D8EC8E00 9C000009
	ds_read_b64 v[158:159], v9 offset:36480                    // 00000001F9A0: D8EC8E80 9E000009
	v_mov_b32_dpp v64, v42 row_shr:4 row_mask:0xf bank_mask:0xf// 00000001F9A8: 7E8002FA FF01142A
	v_mov_b32_dpp v65, v42 row_shl:4 row_mask:0xf bank_mask:0xf// 00000001F9B0: 7E8202FA FF01042A
	v_cndmask_b32_e64 v248, v42, v64, s[44:45]                 // 00000001F9B8: D10000F8 00B2812A
	v_cndmask_b32_e64 v249, v65, v42, s[44:45]                 // 00000001F9C0: D10000F9 00B25541
	v_mov_b32_dpp v64, v248 row_shr:8 row_mask:0xf bank_mask:0xf// 00000001F9C8: 7E8002FA FF0118F8
	v_mov_b32_dpp v65, v248 row_shl:8 row_mask:0xf bank_mask:0xf// 00000001F9D0: 7E8202FA FF0108F8
	v_mov_b32_dpp v66, v249 row_shr:8 row_mask:0xf bank_mask:0xf// 00000001F9D8: 7E8402FA FF0118F9
	v_mov_b32_dpp v67, v249 row_shl:8 row_mask:0xf bank_mask:0xf// 00000001F9E0: 7E8602FA FF0108F9
	v_mov_b32_e32 v68, v248                                    // 00000001F9E8: 7E8803F8
	v_mov_b32_e32 v69, v249                                    // 00000001F9EC: 7E8A03F9
	v_cndmask_b32_e64 v248, v68, v64, s[42:43]                 // 00000001F9F0: D10000F8 00AA8144
	v_cndmask_b32_e64 v250, v68, v65, s[78:79]                 // 00000001F9F8: D10000FA 013A8344
	v_cndmask_b32_e64 v249, v69, v66, s[42:43]                 // 00000001FA00: D10000F9 00AA8545
	v_cndmask_b32_e64 v251, v69, v67, s[78:79]                 // 00000001FA08: D10000FB 013A8745
	v_mov_b32_dpp v64, v57 row_shr:4 row_mask:0xf bank_mask:0xf// 00000001FA10: 7E8002FA FF011439
	v_mov_b32_dpp v65, v57 row_shl:4 row_mask:0xf bank_mask:0xf// 00000001FA18: 7E8202FA FF010439
	v_cndmask_b32_e64 v252, v57, v64, s[44:45]                 // 00000001FA20: D10000FC 00B28139
	v_cndmask_b32_e64 v253, v65, v57, s[44:45]                 // 00000001FA28: D10000FD 00B27341
	v_mov_b32_dpp v64, v252 row_shr:8 row_mask:0xf bank_mask:0xf// 00000001FA30: 7E8002FA FF0118FC
	v_mov_b32_dpp v65, v252 row_shl:8 row_mask:0xf bank_mask:0xf// 00000001FA38: 7E8202FA FF0108FC
	v_mov_b32_dpp v66, v253 row_shr:8 row_mask:0xf bank_mask:0xf// 00000001FA40: 7E8402FA FF0118FD
	v_mov_b32_dpp v67, v253 row_shl:8 row_mask:0xf bank_mask:0xf// 00000001FA48: 7E8602FA FF0108FD
	v_mov_b32_e32 v68, v252                                    // 00000001FA50: 7E8803FC
	v_mov_b32_e32 v69, v253                                    // 00000001FA54: 7E8A03FD
	v_cndmask_b32_e64 v252, v68, v64, s[42:43]                 // 00000001FA58: D10000FC 00AA8144
	v_cndmask_b32_e64 v254, v68, v65, s[78:79]                 // 00000001FA60: D10000FE 013A8344
	v_cndmask_b32_e64 v253, v69, v66, s[42:43]                 // 00000001FA68: D10000FD 00AA8545
	v_cndmask_b32_e64 v255, v69, v67, s[78:79]                 // 00000001FA70: D10000FF 013A8745
	v_mul_f32_e32 v160, v21, v160                              // 00000001FA78: 0B414115
	v_mul_f32_e32 v161, v21, v161                              // 00000001FA7C: 0B434315
	v_mul_f32_e32 v162, v21, v162                              // 00000001FA80: 0B454515
	v_mul_f32_e32 v163, v21, v163                              // 00000001FA84: 0B474715
	v_mul_f32_e32 v164, v21, v164                              // 00000001FA88: 0B494915
	v_mul_f32_e32 v165, v21, v165                              // 00000001FA8C: 0B4B4B15
	v_mul_f32_e32 v166, v21, v166                              // 00000001FA90: 0B4D4D15
	v_mul_f32_e32 v167, v21, v167                              // 00000001FA94: 0B4F4F15
	v_mul_f32_e32 v168, v21, v168                              // 00000001FA98: 0B515115
	v_mul_f32_e32 v169, v21, v169                              // 00000001FA9C: 0B535315
	v_mul_f32_e32 v170, v21, v170                              // 00000001FAA0: 0B555515
	v_mul_f32_e32 v171, v21, v171                              // 00000001FAA4: 0B575715
	v_mul_f32_e32 v172, v21, v172                              // 00000001FAA8: 0B595915
	v_mul_f32_e32 v173, v21, v173                              // 00000001FAAC: 0B5B5B15
	v_mul_f32_e32 v174, v21, v174                              // 00000001FAB0: 0B5D5D15
	v_mul_f32_e32 v175, v21, v175                              // 00000001FAB4: 0B5F5F15
	v_mul_f32_dpp v160, v248, v160 quad_perm:[0,0,0,0] row_mask:0xf bank_mask:0xf// 00000001FAB8: 0B4140FA FF0000F8
	v_mul_f32_dpp v161, v248, v161 quad_perm:[1,1,1,1] row_mask:0xf bank_mask:0xf// 00000001FAC0: 0B4342FA FF0055F8
	v_mul_f32_dpp v162, v248, v162 quad_perm:[2,2,2,2] row_mask:0xf bank_mask:0xf// 00000001FAC8: 0B4544FA FF00AAF8
	v_mul_f32_dpp v163, v248, v163 quad_perm:[3,3,3,3] row_mask:0xf bank_mask:0xf// 00000001FAD0: 0B4746FA FF00FFF8
	v_mul_f32_dpp v164, v249, v164 quad_perm:[0,0,0,0] row_mask:0xf bank_mask:0xf// 00000001FAD8: 0B4948FA FF0000F9
	v_mul_f32_dpp v165, v249, v165 quad_perm:[1,1,1,1] row_mask:0xf bank_mask:0xf// 00000001FAE0: 0B4B4AFA FF0055F9
	v_mul_f32_dpp v166, v249, v166 quad_perm:[2,2,2,2] row_mask:0xf bank_mask:0xf// 00000001FAE8: 0B4D4CFA FF00AAF9
	v_mul_f32_dpp v167, v249, v167 quad_perm:[3,3,3,3] row_mask:0xf bank_mask:0xf// 00000001FAF0: 0B4F4EFA FF00FFF9
	v_mul_f32_dpp v168, v250, v168 quad_perm:[0,0,0,0] row_mask:0xf bank_mask:0xf// 00000001FAF8: 0B5150FA FF0000FA
	v_mul_f32_dpp v169, v250, v169 quad_perm:[1,1,1,1] row_mask:0xf bank_mask:0xf// 00000001FB00: 0B5352FA FF0055FA
	v_mul_f32_dpp v170, v250, v170 quad_perm:[2,2,2,2] row_mask:0xf bank_mask:0xf// 00000001FB08: 0B5554FA FF00AAFA
	v_mul_f32_dpp v171, v250, v171 quad_perm:[3,3,3,3] row_mask:0xf bank_mask:0xf// 00000001FB10: 0B5756FA FF00FFFA
	v_mul_f32_dpp v172, v251, v172 quad_perm:[0,0,0,0] row_mask:0xf bank_mask:0xf// 00000001FB18: 0B5958FA FF0000FB
	v_mul_f32_dpp v173, v251, v173 quad_perm:[1,1,1,1] row_mask:0xf bank_mask:0xf// 00000001FB20: 0B5B5AFA FF0055FB
	v_mul_f32_dpp v174, v251, v174 quad_perm:[2,2,2,2] row_mask:0xf bank_mask:0xf// 00000001FB28: 0B5D5CFA FF00AAFB
	v_mul_f32_dpp v175, v251, v175 quad_perm:[3,3,3,3] row_mask:0xf bank_mask:0xf// 00000001FB30: 0B5F5EFA FF00FFFB
	s_cmp_le_i32 s90, s89                                      // 00000001FB38: BF05595A
	s_cbranch_scc1 label_76C1                                  // 00000001FB3C: BF850071
	v_mov_b32_e32 v66, 0xff800000                              // 00000001FB40: 7E8402FF FF800000
	s_mov_b32 s60, s90                                         // 00000001FB48: BEBC005A
	s_add_u32 s61, s89, 0xff                                   // 00000001FB4C: 803DFF59 000000FF
	v_mov_b32_e32 v64, s61                                     // 00000001FB54: 7E80023D
	v_lshrrev_b32_e32 v240, 4, v0                              // 00000001FB58: 21E00084
	v_mul_i32_i24_e32 v240, 4, v240                            // 00000001FB5C: 0DE1E084
	v_add_u32_e32 v240, s60, v240                              // 00000001FB60: 69E1E03C
	s_mov_b32 s61, 3                                           // 00000001FB64: BEBD0083
	s_mul_i32 s60, 16, s7                                      // 00000001FB68: 923C0790
	v_sub_u32_e64 v240, v240, s61                              // 00000001FB6C: D13500F0 00007BF0
	v_add_u32_e32 v240, s60, v240                              // 00000001FB74: 69E1E03C
	v_add_u32_e32 v241, 1, v240                                // 00000001FB78: 69E3E081
	v_add_u32_e32 v242, 2, v240                                // 00000001FB7C: 69E5E082
	v_add_u32_e32 v243, 3, v240                                // 00000001FB80: 69E7E083
	v_cmp_le_u32_e64 s[40:41], v240, v64                       // 00000001FB84: D0CB0028 000281F0
	v_add_u32_e32 v240, 64, v240                               // 00000001FB8C: 69E1E0C0
	s_nop 0                                                    // 00000001FB90: BF800000
	v_cndmask_b32_e64 v160, v66, v160, s[40:41]                // 00000001FB94: D10000A0 00A34142
	v_cmp_le_u32_e64 s[40:41], v241, v64                       // 00000001FB9C: D0CB0028 000281F1
	v_add_u32_e32 v241, 64, v241                               // 00000001FBA4: 69E3E2C0
	s_nop 0                                                    // 00000001FBA8: BF800000
	v_cndmask_b32_e64 v161, v66, v161, s[40:41]                // 00000001FBAC: D10000A1 00A34342
	v_cmp_le_u32_e64 s[40:41], v242, v64                       // 00000001FBB4: D0CB0028 000281F2
	v_add_u32_e32 v242, 64, v242                               // 00000001FBBC: 69E5E4C0
	s_nop 0                                                    // 00000001FBC0: BF800000
	v_cndmask_b32_e64 v162, v66, v162, s[40:41]                // 00000001FBC4: D10000A2 00A34542
	v_cmp_le_u32_e64 s[40:41], v243, v64                       // 00000001FBCC: D0CB0028 000281F3
	v_add_u32_e32 v243, 64, v243                               // 00000001FBD4: 69E7E6C0
	s_nop 0                                                    // 00000001FBD8: BF800000
	v_cndmask_b32_e64 v163, v66, v163, s[40:41]                // 00000001FBDC: D10000A3 00A34742
	v_cmp_le_u32_e64 s[40:41], v240, v64                       // 00000001FBE4: D0CB0028 000281F0
	v_add_u32_e32 v240, 64, v240                               // 00000001FBEC: 69E1E0C0
	s_nop 0                                                    // 00000001FBF0: BF800000
	v_cndmask_b32_e64 v164, v66, v164, s[40:41]                // 00000001FBF4: D10000A4 00A34942
	v_cmp_le_u32_e64 s[40:41], v241, v64                       // 00000001FBFC: D0CB0028 000281F1
	v_add_u32_e32 v241, 64, v241                               // 00000001FC04: 69E3E2C0
	s_nop 0                                                    // 00000001FC08: BF800000
	v_cndmask_b32_e64 v165, v66, v165, s[40:41]                // 00000001FC0C: D10000A5 00A34B42
	v_cmp_le_u32_e64 s[40:41], v242, v64                       // 00000001FC14: D0CB0028 000281F2
	v_add_u32_e32 v242, 64, v242                               // 00000001FC1C: 69E5E4C0
	s_nop 0                                                    // 00000001FC20: BF800000
	v_cndmask_b32_e64 v166, v66, v166, s[40:41]                // 00000001FC24: D10000A6 00A34D42
	v_cmp_le_u32_e64 s[40:41], v243, v64                       // 00000001FC2C: D0CB0028 000281F3
	v_add_u32_e32 v243, 64, v243                               // 00000001FC34: 69E7E6C0
	s_nop 0                                                    // 00000001FC38: BF800000
	v_cndmask_b32_e64 v167, v66, v167, s[40:41]                // 00000001FC3C: D10000A7 00A34F42
	v_cmp_le_u32_e64 s[40:41], v240, v64                       // 00000001FC44: D0CB0028 000281F0
	v_add_u32_e32 v240, 64, v240                               // 00000001FC4C: 69E1E0C0
	s_nop 0                                                    // 00000001FC50: BF800000
	v_cndmask_b32_e64 v168, v66, v168, s[40:41]                // 00000001FC54: D10000A8 00A35142
	v_cmp_le_u32_e64 s[40:41], v241, v64                       // 00000001FC5C: D0CB0028 000281F1
	v_add_u32_e32 v241, 64, v241                               // 00000001FC64: 69E3E2C0
	s_nop 0                                                    // 00000001FC68: BF800000
	v_cndmask_b32_e64 v169, v66, v169, s[40:41]                // 00000001FC6C: D10000A9 00A35342
	v_cmp_le_u32_e64 s[40:41], v242, v64                       // 00000001FC74: D0CB0028 000281F2
	v_add_u32_e32 v242, 64, v242                               // 00000001FC7C: 69E5E4C0
	s_nop 0                                                    // 00000001FC80: BF800000
	v_cndmask_b32_e64 v170, v66, v170, s[40:41]                // 00000001FC84: D10000AA 00A35542
	v_cmp_le_u32_e64 s[40:41], v243, v64                       // 00000001FC8C: D0CB0028 000281F3
	v_add_u32_e32 v243, 64, v243                               // 00000001FC94: 69E7E6C0
	s_nop 0                                                    // 00000001FC98: BF800000
	v_cndmask_b32_e64 v171, v66, v171, s[40:41]                // 00000001FC9C: D10000AB 00A35742
	v_cmp_le_u32_e64 s[40:41], v240, v64                       // 00000001FCA4: D0CB0028 000281F0
	v_add_u32_e32 v240, 64, v240                               // 00000001FCAC: 69E1E0C0
	s_nop 0                                                    // 00000001FCB0: BF800000
	v_cndmask_b32_e64 v172, v66, v172, s[40:41]                // 00000001FCB4: D10000AC 00A35942
	v_cmp_le_u32_e64 s[40:41], v241, v64                       // 00000001FCBC: D0CB0028 000281F1
	v_add_u32_e32 v241, 64, v241                               // 00000001FCC4: 69E3E2C0
	s_nop 0                                                    // 00000001FCC8: BF800000
	v_cndmask_b32_e64 v173, v66, v173, s[40:41]                // 00000001FCCC: D10000AD 00A35B42
	v_cmp_le_u32_e64 s[40:41], v242, v64                       // 00000001FCD4: D0CB0028 000281F2
	v_add_u32_e32 v242, 64, v242                               // 00000001FCDC: 69E5E4C0
	s_nop 0                                                    // 00000001FCE0: BF800000
	v_cndmask_b32_e64 v174, v66, v174, s[40:41]                // 00000001FCE4: D10000AE 00A35D42
	v_cmp_le_u32_e64 s[40:41], v243, v64                       // 00000001FCEC: D0CB0028 000281F3
	v_add_u32_e32 v243, 64, v243                               // 00000001FCF4: 69E7E6C0
	s_nop 0                                                    // 00000001FCF8: BF800000
	v_cndmask_b32_e64 v175, v66, v175, s[40:41]                // 00000001FCFC: D10000AF 00A35F42

000000000001fd04 <label_76C1>:
	s_add_u32 s90, s91, s90                                    // 00000001FD04: 805A5A5B
	v_mov_b32_e32 v48, v160                                    // 00000001FD08: 7E6003A0
	v_max3_f32 v48, v160, v161, v48                            // 00000001FD0C: D1D30030 04C343A0
	v_max3_f32 v48, v162, v163, v48                            // 00000001FD14: D1D30030 04C347A2
	v_max3_f32 v48, v164, v165, v48                            // 00000001FD1C: D1D30030 04C34BA4
	v_max3_f32 v48, v166, v167, v48                            // 00000001FD24: D1D30030 04C34FA6
	v_max3_f32 v48, v168, v169, v48                            // 00000001FD2C: D1D30030 04C353A8
	v_max3_f32 v48, v170, v171, v48                            // 00000001FD34: D1D30030 04C357AA
	v_max3_f32 v48, v172, v173, v48                            // 00000001FD3C: D1D30030 04C35BAC
	v_max3_f32 v48, v174, v175, v48                            // 00000001FD44: D1D30030 04C35FAE
	ds_write_b32 v8, v48 offset:16896                          // 00000001FD4C: D81A4200 00003008
	v_mul_f32_e32 v232, v52, v232                              // 00000001FD54: 0BD1D134
	v_mul_f32_e32 v233, v52, v233                              // 00000001FD58: 0BD3D334
	v_mul_f32_e32 v234, v52, v234                              // 00000001FD5C: 0BD5D534
	v_mul_f32_e32 v235, v52, v235                              // 00000001FD60: 0BD7D734
	v_mul_f32_e32 v236, v52, v236                              // 00000001FD64: 0BD9D934
	v_mul_f32_e32 v237, v52, v237                              // 00000001FD68: 0BDBDB34
	v_mul_f32_e32 v238, v52, v238                              // 00000001FD6C: 0BDDDD34
	v_mul_f32_e32 v239, v52, v239                              // 00000001FD70: 0BDFDF34
	s_waitcnt lgkmcnt(0)                                       // 00000001FD74: BF8CC07F
	s_barrier                                                  // 00000001FD78: BF8A0000
	ds_read_b32 v64, v7 offset:16896                           // 00000001FD7C: D86C4200 40000007
	ds_read_b32 v65, v7 offset:16960                           // 00000001FD84: D86C4240 41000007
	ds_read_b32 v66, v7 offset:17024                           // 00000001FD8C: D86C4280 42000007
	ds_read_b32 v67, v7 offset:17088                           // 00000001FD94: D86C42C0 43000007
	ds_read_b32 v68, v7 offset:17152                           // 00000001FD9C: D86C4300 44000007
	ds_read_b32 v69, v7 offset:17216                           // 00000001FDA4: D86C4340 45000007
	ds_read_b32 v70, v7 offset:17280                           // 00000001FDAC: D86C4380 46000007
	ds_read_b32 v71, v7 offset:17344                           // 00000001FDB4: D86C43C0 47000007
	ds_read_b32 v72, v7 offset:17408                           // 00000001FDBC: D86C4400 48000007
	ds_read_b32 v73, v7 offset:17472                           // 00000001FDC4: D86C4440 49000007
	ds_read_b32 v74, v7 offset:17536                           // 00000001FDCC: D86C4480 4A000007
	ds_read_b32 v75, v7 offset:17600                           // 00000001FDD4: D86C44C0 4B000007
	ds_read_b32 v76, v7 offset:17664                           // 00000001FDDC: D86C4500 4C000007
	ds_read_b32 v77, v7 offset:17728                           // 00000001FDE4: D86C4540 4D000007
	ds_read_b32 v78, v7 offset:17792                           // 00000001FDEC: D86C4580 4E000007
	ds_read_b32 v79, v7 offset:17856                           // 00000001FDF4: D86C45C0 4F000007
	v_mul_f32_e32 v200, v47, v200                              // 00000001FDFC: 0B91912F
	v_mul_f32_e32 v201, v47, v201                              // 00000001FE00: 0B93932F
	v_mul_f32_e32 v202, v47, v202                              // 00000001FE04: 0B95952F
	v_mul_f32_e32 v203, v47, v203                              // 00000001FE08: 0B97972F
	v_mul_f32_e32 v204, v47, v204                              // 00000001FE0C: 0B99992F
	v_mul_f32_e32 v205, v47, v205                              // 00000001FE10: 0B9B9B2F
	v_mul_f32_e32 v206, v47, v206                              // 00000001FE14: 0B9D9D2F
	v_mul_f32_e32 v207, v47, v207                              // 00000001FE18: 0B9F9F2F
	s_waitcnt lgkmcnt(0)                                       // 00000001FE1C: BF8CC07F
	v_max3_f32 v48, v64, v65, v48                              // 00000001FE20: D1D30030 04C28340
	v_max3_f32 v48, v66, v67, v48                              // 00000001FE28: D1D30030 04C28742
	v_max3_f32 v48, v68, v69, v48                              // 00000001FE30: D1D30030 04C28B44
	v_max3_f32 v48, v70, v71, v48                              // 00000001FE38: D1D30030 04C28F46
	v_max3_f32 v48, v72, v73, v48                              // 00000001FE40: D1D30030 04C29348
	v_max3_f32 v48, v74, v75, v48                              // 00000001FE48: D1D30030 04C2974A
	v_max3_f32 v48, v76, v77, v48                              // 00000001FE50: D1D30030 04C29B4C
	v_max3_f32 v48, v78, v79, v48                              // 00000001FE58: D1D30030 04C29F4E
	v_mov_b32_e32 v64, 0xff800000                              // 00000001FE60: 7E8002FF FF800000
	v_cmp_eq_u32_e64 s[40:41], v64, v14                        // 00000001FE68: D0CA0028 00021D40
	s_nop 1                                                    // 00000001FE70: BF800001
	v_max_f32_e32 v15, v48, v14                                // 00000001FE74: 161E1D30
	v_mul_f32_e32 v53, s64, v15                                // 00000001FE78: 0A6A1E40
	v_fma_f32 v160, v160, s64, -v53                            // 00000001FE7C: D1CB00A0 84D481A0
	v_fma_f32 v161, v161, s64, -v53                            // 00000001FE84: D1CB00A1 84D481A1
	v_fma_f32 v162, v162, s64, -v53                            // 00000001FE8C: D1CB00A2 84D481A2
	v_fma_f32 v163, v163, s64, -v53                            // 00000001FE94: D1CB00A3 84D481A3
	v_fma_f32 v164, v164, s64, -v53                            // 00000001FE9C: D1CB00A4 84D481A4
	v_fma_f32 v165, v165, s64, -v53                            // 00000001FEA4: D1CB00A5 84D481A5
	v_fma_f32 v166, v166, s64, -v53                            // 00000001FEAC: D1CB00A6 84D481A6
	v_fma_f32 v167, v167, s64, -v53                            // 00000001FEB4: D1CB00A7 84D481A7
	v_fma_f32 v168, v168, s64, -v53                            // 00000001FEBC: D1CB00A8 84D481A8
	v_fma_f32 v169, v169, s64, -v53                            // 00000001FEC4: D1CB00A9 84D481A9
	v_fma_f32 v170, v170, s64, -v53                            // 00000001FECC: D1CB00AA 84D481AA
	v_fma_f32 v171, v171, s64, -v53                            // 00000001FED4: D1CB00AB 84D481AB
	v_fma_f32 v172, v172, s64, -v53                            // 00000001FEDC: D1CB00AC 84D481AC
	v_fma_f32 v173, v173, s64, -v53                            // 00000001FEE4: D1CB00AD 84D481AD
	v_fma_f32 v174, v174, s64, -v53                            // 00000001FEEC: D1CB00AE 84D481AE
	v_fma_f32 v175, v175, s64, -v53                            // 00000001FEF4: D1CB00AF 84D481AF
	v_exp_f32_e32 v160, v160                                   // 00000001FEFC: 7F4041A0
	v_exp_f32_e32 v161, v161                                   // 00000001FF00: 7F4241A1
	v_exp_f32_e32 v162, v162                                   // 00000001FF04: 7F4441A2
	v_exp_f32_e32 v163, v163                                   // 00000001FF08: 7F4641A3
	v_exp_f32_e32 v164, v164                                   // 00000001FF0C: 7F4841A4
	v_exp_f32_e32 v165, v165                                   // 00000001FF10: 7F4A41A5
	v_exp_f32_e32 v166, v166                                   // 00000001FF14: 7F4C41A6
	v_exp_f32_e32 v167, v167                                   // 00000001FF18: 7F4E41A7
	v_exp_f32_e32 v168, v168                                   // 00000001FF1C: 7F5041A8
	v_exp_f32_e32 v169, v169                                   // 00000001FF20: 7F5241A9
	v_exp_f32_e32 v170, v170                                   // 00000001FF24: 7F5441AA
	v_exp_f32_e32 v171, v171                                   // 00000001FF28: 7F5641AB
	v_exp_f32_e32 v172, v172                                   // 00000001FF2C: 7F5841AC
	v_exp_f32_e32 v173, v173                                   // 00000001FF30: 7F5A41AD
	v_exp_f32_e32 v174, v174                                   // 00000001FF34: 7F5C41AE
	v_exp_f32_e32 v175, v175                                   // 00000001FF38: 7F5E41AF
	v_mul_f32_dpp v240, v252, v160 quad_perm:[0,0,0,0] row_mask:0xf bank_mask:0xf// 00000001FF3C: 0BE140FA FF0000FC
	v_mul_f32_dpp v241, v252, v161 quad_perm:[1,1,1,1] row_mask:0xf bank_mask:0xf// 00000001FF44: 0BE342FA FF0055FC
	v_mul_f32_dpp v242, v252, v162 quad_perm:[2,2,2,2] row_mask:0xf bank_mask:0xf// 00000001FF4C: 0BE544FA FF00AAFC
	v_mul_f32_dpp v243, v252, v163 quad_perm:[3,3,3,3] row_mask:0xf bank_mask:0xf// 00000001FF54: 0BE746FA FF00FFFC
	v_mul_f32_dpp v244, v253, v164 quad_perm:[0,0,0,0] row_mask:0xf bank_mask:0xf// 00000001FF5C: 0BE948FA FF0000FD
	v_mul_f32_dpp v245, v253, v165 quad_perm:[1,1,1,1] row_mask:0xf bank_mask:0xf// 00000001FF64: 0BEB4AFA FF0055FD
	v_mul_f32_dpp v246, v253, v166 quad_perm:[2,2,2,2] row_mask:0xf bank_mask:0xf// 00000001FF6C: 0BED4CFA FF00AAFD
	v_mul_f32_dpp v247, v253, v167 quad_perm:[3,3,3,3] row_mask:0xf bank_mask:0xf// 00000001FF74: 0BEF4EFA FF00FFFD
	v_mul_f32_dpp v248, v254, v168 quad_perm:[0,0,0,0] row_mask:0xf bank_mask:0xf// 00000001FF7C: 0BF150FA FF0000FE
	v_mul_f32_dpp v249, v254, v169 quad_perm:[1,1,1,1] row_mask:0xf bank_mask:0xf// 00000001FF84: 0BF352FA FF0055FE
	v_mul_f32_dpp v250, v254, v170 quad_perm:[2,2,2,2] row_mask:0xf bank_mask:0xf// 00000001FF8C: 0BF554FA FF00AAFE
	v_mul_f32_dpp v251, v254, v171 quad_perm:[3,3,3,3] row_mask:0xf bank_mask:0xf// 00000001FF94: 0BF756FA FF00FFFE
	v_mul_f32_dpp v252, v255, v172 quad_perm:[0,0,0,0] row_mask:0xf bank_mask:0xf// 00000001FF9C: 0BF958FA FF0000FF
	v_mul_f32_dpp v253, v255, v173 quad_perm:[1,1,1,1] row_mask:0xf bank_mask:0xf// 00000001FFA4: 0BFB5AFA FF0055FF
	v_mul_f32_dpp v254, v255, v174 quad_perm:[2,2,2,2] row_mask:0xf bank_mask:0xf// 00000001FFAC: 0BFD5CFA FF00AAFF
	v_mul_f32_dpp v255, v255, v175 quad_perm:[3,3,3,3] row_mask:0xf bank_mask:0xf// 00000001FFB4: 0BFF5EFA FF00FFFF
	v_mov_b32_e32 v48, 0x358637bd                              // 00000001FFBC: 7E6002FF 358637BD
	v_max3_f32 v48, |v240|, |v241|, v48                        // 00000001FFC4: D1D30330 04C3E3F0
	v_max3_f32 v48, |v242|, |v243|, v48                        // 00000001FFCC: D1D30330 04C3E7F2
	v_max3_f32 v48, |v244|, |v245|, v48                        // 00000001FFD4: D1D30330 04C3EBF4
	v_max3_f32 v48, |v246|, |v247|, v48                        // 00000001FFDC: D1D30330 04C3EFF6
	v_max3_f32 v48, |v248|, |v249|, v48                        // 00000001FFE4: D1D30330 04C3F3F8
	v_max3_f32 v48, |v250|, |v251|, v48                        // 00000001FFEC: D1D30330 04C3F7FA
	v_max3_f32 v48, |v252|, |v253|, v48                        // 00000001FFF4: D1D30330 04C3FBFC
	v_max3_f32 v48, |v254|, |v255|, v48                        // 00000001FFFC: D1D30330 04C3FFFE
	ds_write_b32 v8, v48 offset:20992                          // 000000020004: D81A5200 00003008
	v_sub_f32_e32 v52, v14, v15                                // 00000002000C: 04681F0E
	v_cndmask_b32_e64 v52, v52, 0, s[40:41]                    // 000000020010: D1000034 00A10134
	v_mov_b32_e32 v14, v15                                     // 000000020018: 7E1C030F
	v_mul_f32_e32 v52, s64, v52                                // 00000002001C: 0A686840
	v_exp_f32_e32 v52, v52                                     // 000000020020: 7E684134
	s_waitcnt lgkmcnt(0)                                       // 000000020024: BF8CC07F
	s_barrier                                                  // 000000020028: BF8A0000
	ds_read_b32 v64, v7 offset:20992                           // 00000002002C: D86C5200 40000007
	ds_read_b32 v65, v7 offset:21056                           // 000000020034: D86C5240 41000007
	ds_read_b32 v66, v7 offset:21120                           // 00000002003C: D86C5280 42000007
	ds_read_b32 v67, v7 offset:21184                           // 000000020044: D86C52C0 43000007
	ds_read_b32 v68, v7 offset:21248                           // 00000002004C: D86C5300 44000007
	ds_read_b32 v69, v7 offset:21312                           // 000000020054: D86C5340 45000007
	ds_read_b32 v70, v7 offset:21376                           // 00000002005C: D86C5380 46000007
	ds_read_b32 v71, v7 offset:21440                           // 000000020064: D86C53C0 47000007
	ds_read_b32 v72, v7 offset:21504                           // 00000002006C: D86C5400 48000007
	ds_read_b32 v73, v7 offset:21568                           // 000000020074: D86C5440 49000007
	ds_read_b32 v74, v7 offset:21632                           // 00000002007C: D86C5480 4A000007
	ds_read_b32 v75, v7 offset:21696                           // 000000020084: D86C54C0 4B000007
	ds_read_b32 v76, v7 offset:21760                           // 00000002008C: D86C5500 4C000007
	ds_read_b32 v77, v7 offset:21824                           // 000000020094: D86C5540 4D000007
	ds_read_b32 v78, v7 offset:21888                           // 00000002009C: D86C5580 4E000007
	ds_read_b32 v79, v7 offset:21952                           // 0000000200A4: D86C55C0 4F000007
	v_mul_f32_e32 v41, v52, v41                                // 0000000200AC: 0A525334
	v_mov_b32_e32 v15, v160                                    // 0000000200B0: 7E1E03A0
	v_add_f32_e32 v15, v161, v15                               // 0000000200B4: 021E1FA1
	v_add_f32_e32 v15, v162, v15                               // 0000000200B8: 021E1FA2
	v_add_f32_e32 v15, v163, v15                               // 0000000200BC: 021E1FA3
	v_add_f32_e32 v15, v164, v15                               // 0000000200C0: 021E1FA4
	v_add_f32_e32 v15, v165, v15                               // 0000000200C4: 021E1FA5
	v_add_f32_e32 v15, v166, v15                               // 0000000200C8: 021E1FA6
	v_add_f32_e32 v15, v167, v15                               // 0000000200CC: 021E1FA7
	v_add_f32_e32 v15, v168, v15                               // 0000000200D0: 021E1FA8
	v_add_f32_e32 v15, v169, v15                               // 0000000200D4: 021E1FA9
	v_add_f32_e32 v15, v170, v15                               // 0000000200D8: 021E1FAA
	v_add_f32_e32 v15, v171, v15                               // 0000000200DC: 021E1FAB
	v_add_f32_e32 v15, v172, v15                               // 0000000200E0: 021E1FAC
	v_add_f32_e32 v15, v173, v15                               // 0000000200E4: 021E1FAD
	v_add_f32_e32 v15, v174, v15                               // 0000000200E8: 021E1FAE
	v_add_f32_e32 v15, v175, v15                               // 0000000200EC: 021E1FAF
	v_add_f32_e32 v41, v15, v41                                // 0000000200F0: 0252530F
	s_waitcnt lgkmcnt(0)                                       // 0000000200F4: BF8CC07F
	v_max3_f32 v48, |v64|, |v65|, v48                          // 0000000200F8: D1D30330 04C28340
	v_max3_f32 v48, |v66|, |v67|, v48                          // 000000020100: D1D30330 04C28742
	v_max3_f32 v48, |v68|, |v69|, v48                          // 000000020108: D1D30330 04C28B44
	v_max3_f32 v48, |v70|, |v71|, v48                          // 000000020110: D1D30330 04C28F46
	v_max3_f32 v48, |v72|, |v73|, v48                          // 000000020118: D1D30330 04C29348
	v_max3_f32 v48, |v74|, |v75|, v48                          // 000000020120: D1D30330 04C2974A
	v_max3_f32 v48, |v76|, |v77|, v48                          // 000000020128: D1D30330 04C29B4C
	v_max3_f32 v48, |v78|, |v79|, v48                          // 000000020130: D1D30330 04C29F4E
	s_nop 2                                                    // 000000020138: BF800002
	v_rcp_f32_e32 v48, v48                                     // 00000002013C: 7E604530
	s_nop 1                                                    // 000000020140: BF800001
	v_mul_f32_e32 v48, 0x43700000, v48                         // 000000020144: 0A6060FF 43700000
	v_mul_f32_e32 v160, v48, v240                              // 00000002014C: 0B41E130
	v_mul_f32_e32 v161, v48, v241                              // 000000020150: 0B43E330
	v_mul_f32_e32 v162, v48, v242                              // 000000020154: 0B45E530
	v_mul_f32_e32 v163, v48, v243                              // 000000020158: 0B47E730
	v_mul_f32_e32 v164, v48, v244                              // 00000002015C: 0B49E930
	v_mul_f32_e32 v165, v48, v245                              // 000000020160: 0B4BEB30
	v_mul_f32_e32 v166, v48, v246                              // 000000020164: 0B4DED30
	v_mul_f32_e32 v167, v48, v247                              // 000000020168: 0B4FEF30
	v_mul_f32_e32 v168, v48, v248                              // 00000002016C: 0B51F130
	v_mul_f32_e32 v169, v48, v249                              // 000000020170: 0B53F330
	v_mul_f32_e32 v170, v48, v250                              // 000000020174: 0B55F530
	v_mul_f32_e32 v171, v48, v251                              // 000000020178: 0B57F730
	v_mul_f32_e32 v172, v48, v252                              // 00000002017C: 0B59F930
	v_mul_f32_e32 v173, v48, v253                              // 000000020180: 0B5BFB30
	v_mul_f32_e32 v174, v48, v254                              // 000000020184: 0B5DFD30
	v_mul_f32_e32 v175, v48, v255                              // 000000020188: 0B5FFF30
	v_cvt_pk_fp8_f32 v160, v160, v161                          // 00000002018C: D2A200A0 000343A0
	v_cvt_pk_fp8_f32 v160, v162, v163 op_sel:[0,0,1]           // 000000020194: D2A240A0 000347A2
	v_cvt_pk_fp8_f32 v161, v164, v165                          // 00000002019C: D2A200A1 00034BA4
	v_cvt_pk_fp8_f32 v161, v166, v167 op_sel:[0,0,1]           // 0000000201A4: D2A240A1 00034FA6
	v_cvt_pk_fp8_f32 v162, v168, v169                          // 0000000201AC: D2A200A2 000353A8
	v_cvt_pk_fp8_f32 v162, v170, v171 op_sel:[0,0,1]           // 0000000201B4: D2A240A2 000357AA
	v_cvt_pk_fp8_f32 v163, v172, v173                          // 0000000201BC: D2A200A3 00035BAC
	v_cvt_pk_fp8_f32 v163, v174, v175 op_sel:[0,0,1]           // 0000000201C4: D2A240A3 00035FAE
	ds_write_b32 v10, v160 offset:37376                        // 0000000201CC: D81A9200 0000A00A
	ds_write_b32 v10, v161 offset:38400                        // 0000000201D4: D81A9600 0000A10A
	ds_write_b32 v10, v162 offset:39424                        // 0000000201DC: D81A9A00 0000A20A
	ds_write_b32 v10, v163 offset:40448                        // 0000000201E4: D81A9E00 0000A30A
	v_add_f32_e32 v232, v232, v200                             // 0000000201EC: 03D191E8
	v_add_f32_e32 v233, v233, v201                             // 0000000201F0: 03D393E9
	v_add_f32_e32 v234, v234, v202                             // 0000000201F4: 03D595EA
	v_add_f32_e32 v235, v235, v203                             // 0000000201F8: 03D797EB
	v_add_f32_e32 v236, v236, v204                             // 0000000201FC: 03D999EC
	v_add_f32_e32 v237, v237, v205                             // 000000020200: 03DB9BED
	v_add_f32_e32 v238, v238, v206                             // 000000020204: 03DD9DEE
	v_add_f32_e32 v239, v239, v207                             // 000000020208: 03DF9FEF
	v_rcp_f32_e32 v47, v48                                     // 00000002020C: 7E5E4530
	s_waitcnt lgkmcnt(0)                                       // 000000020210: BF8CC07F
	s_barrier                                                  // 000000020214: BF8A0000
	ds_read_b64 v[160:161], v9 offset:37376                    // 000000020218: D8EC9200 A0000009
	ds_read_b64 v[162:163], v9 offset:37504                    // 000000020220: D8EC9280 A2000009
	ds_read_b64 v[164:165], v9 offset:38400                    // 000000020228: D8EC9600 A4000009
	ds_read_b64 v[166:167], v9 offset:38528                    // 000000020230: D8EC9680 A6000009
	ds_read_b64 v[168:169], v9 offset:39424                    // 000000020238: D8EC9A00 A8000009
	ds_read_b64 v[170:171], v9 offset:39552                    // 000000020240: D8EC9A80 AA000009
	ds_read_b64 v[172:173], v9 offset:40448                    // 000000020248: D8EC9E00 AC000009
	ds_read_b64 v[174:175], v9 offset:40576                    // 000000020250: D8EC9E80 AE000009
	s_waitcnt vmcnt(15)                                        // 000000020258: BF8C0F7F
	v_mfma_f32_16x16x32_fp8_fp8 v[176:179], a[64:65], v[112:113], 0// 00000002025C: D3F300B0 0A02E140
	v_mfma_f32_16x16x32_fp8_fp8 v[176:179], a[66:67], v[114:115], v[176:179]// 000000020264: D3F300B0 0EC2E542
	buffer_load_dwordx4 a[112:115], v34, s[20:23], 0 offen offset:1024// 00000002026C: E05C1400 80857022
	v_mfma_f32_16x16x32_fp8_fp8 v[176:179], a[68:69], v[116:117], v[176:179]// 000000020274: D3F300B0 0EC2E944
	v_mfma_f32_16x16x32_fp8_fp8 v[176:179], a[70:71], v[118:119], v[176:179]// 00000002027C: D3F300B0 0EC2ED46
	v_mfma_f32_16x16x32_fp8_fp8 v[176:179], a[72:73], v[120:121], v[176:179]// 000000020284: D3F300B0 0EC2F148
	v_mfma_f32_16x16x32_fp8_fp8 v[176:179], a[74:75], v[122:123], v[176:179]// 00000002028C: D3F300B0 0EC2F54A
	buffer_load_dwordx4 a[116:119], v35, s[20:23], 0 offen offset:1024// 000000020294: E05C1400 80857423
	v_mfma_f32_16x16x32_fp8_fp8 v[176:179], a[76:77], v[124:125], v[176:179]// 00000002029C: D3F300B0 0EC2F94C
	v_mfma_f32_16x16x32_fp8_fp8 v[176:179], a[78:79], v[126:127], v[176:179]// 0000000202A4: D3F300B0 0EC2FD4E
	v_mfma_f32_16x16x32_fp8_fp8 v[180:183], a[80:81], v[112:113], 0// 0000000202AC: D3F300B4 0A02E150
	v_mfma_f32_16x16x32_fp8_fp8 v[180:183], a[82:83], v[114:115], v[180:183]// 0000000202B4: D3F300B4 0ED2E552
	buffer_load_dwordx4 a[120:123], v36, s[20:23], 0 offen offset:1024// 0000000202BC: E05C1400 80857824
	v_mfma_f32_16x16x32_fp8_fp8 v[180:183], a[84:85], v[116:117], v[180:183]// 0000000202C4: D3F300B4 0ED2E954
	v_mfma_f32_16x16x32_fp8_fp8 v[180:183], a[86:87], v[118:119], v[180:183]// 0000000202CC: D3F300B4 0ED2ED56
	v_mfma_f32_16x16x32_fp8_fp8 v[180:183], a[88:89], v[120:121], v[180:183]// 0000000202D4: D3F300B4 0ED2F158
	v_mfma_f32_16x16x32_fp8_fp8 v[180:183], a[90:91], v[122:123], v[180:183]// 0000000202DC: D3F300B4 0ED2F55A
	buffer_load_dwordx4 a[124:127], v37, s[20:23], 0 offen offset:1024// 0000000202E4: E05C1400 80857C25
	v_mfma_f32_16x16x32_fp8_fp8 v[180:183], a[92:93], v[124:125], v[180:183]// 0000000202EC: D3F300B4 0ED2F95C
	s_lshr_b32 s57, s70, 4                                     // 0000000202F4: 8F398446
	s_add_u32 s57, 48, s57                                     // 0000000202F8: 803939B0
	v_mfma_f32_16x16x32_fp8_fp8 v[180:183], a[94:95], v[126:127], v[180:183]// 0000000202FC: D3F300B4 0ED2FD5E
	s_cmp_ge_u32 s57, s73                                      // 000000020304: BF094939
	s_cselect_b32 s56, 0, s56                                  // 000000020308: 85383880
	v_mfma_f32_16x16x32_fp8_fp8 v[184:187], a[64:65], v[128:129], 0// 00000002030C: D3F300B8 0A030140
	v_mfma_f32_16x16x32_fp8_fp8 v[184:187], a[66:67], v[130:131], v[184:187]// 000000020314: D3F300B8 0EE30542
	v_mfma_f32_16x16x32_fp8_fp8 v[184:187], a[68:69], v[132:133], v[184:187]// 00000002031C: D3F300B8 0EE30944
	v_mfma_f32_16x16x32_fp8_fp8 v[184:187], a[70:71], v[134:135], v[184:187]// 000000020324: D3F300B8 0EE30D46
	v_mfma_f32_16x16x32_fp8_fp8 v[184:187], a[72:73], v[136:137], v[184:187]// 00000002032C: D3F300B8 0EE31148
	v_mfma_f32_16x16x32_fp8_fp8 v[184:187], a[74:75], v[138:139], v[184:187]// 000000020334: D3F300B8 0EE3154A
	v_mfma_f32_16x16x32_fp8_fp8 v[184:187], a[76:77], v[140:141], v[184:187]// 00000002033C: D3F300B8 0EE3194C
	v_mfma_f32_16x16x32_fp8_fp8 v[184:187], a[78:79], v[142:143], v[184:187]// 000000020344: D3F300B8 0EE31D4E
	v_mfma_f32_16x16x32_fp8_fp8 v[188:191], a[80:81], v[128:129], 0// 00000002034C: D3F300BC 0A030150
	v_mfma_f32_16x16x32_fp8_fp8 v[188:191], a[82:83], v[130:131], v[188:191]// 000000020354: D3F300BC 0EF30552
	v_mfma_f32_16x16x32_fp8_fp8 v[188:191], a[84:85], v[132:133], v[188:191]// 00000002035C: D3F300BC 0EF30954
	v_mfma_f32_16x16x32_fp8_fp8 v[188:191], a[86:87], v[134:135], v[188:191]// 000000020364: D3F300BC 0EF30D56
	v_mfma_f32_16x16x32_fp8_fp8 v[188:191], a[88:89], v[136:137], v[188:191]// 00000002036C: D3F300BC 0EF31158
	v_mfma_f32_16x16x32_fp8_fp8 v[188:191], a[90:91], v[138:139], v[188:191]// 000000020374: D3F300BC 0EF3155A
	v_mfma_f32_16x16x32_fp8_fp8 v[188:191], a[92:93], v[140:141], v[188:191]// 00000002037C: D3F300BC 0EF3195C
	v_mfma_f32_16x16x32_fp8_fp8 v[188:191], a[94:95], v[142:143], v[188:191]// 000000020384: D3F300BC 0EF31D5E
	v_mfma_f32_16x16x32_fp8_fp8 v[192:195], a[64:65], v[144:145], 0// 00000002038C: D3F300C0 0A032140
	v_mfma_f32_16x16x32_fp8_fp8 v[192:195], a[66:67], v[146:147], v[192:195]// 000000020394: D3F300C0 0F032542
	v_mfma_f32_16x16x32_fp8_fp8 v[192:195], a[68:69], v[148:149], v[192:195]// 00000002039C: D3F300C0 0F032944
	v_mfma_f32_16x16x32_fp8_fp8 v[192:195], a[70:71], v[150:151], v[192:195]// 0000000203A4: D3F300C0 0F032D46
	v_mfma_f32_16x16x32_fp8_fp8 v[192:195], a[72:73], v[152:153], v[192:195]// 0000000203AC: D3F300C0 0F033148
	v_mfma_f32_16x16x32_fp8_fp8 v[192:195], a[74:75], v[154:155], v[192:195]// 0000000203B4: D3F300C0 0F03354A
	v_mfma_f32_16x16x32_fp8_fp8 v[192:195], a[76:77], v[156:157], v[192:195]// 0000000203BC: D3F300C0 0F03394C
	v_mfma_f32_16x16x32_fp8_fp8 v[192:195], a[78:79], v[158:159], v[192:195]// 0000000203C4: D3F300C0 0F033D4E
	v_mfma_f32_16x16x32_fp8_fp8 v[196:199], a[80:81], v[144:145], 0// 0000000203CC: D3F300C4 0A032150
	v_mfma_f32_16x16x32_fp8_fp8 v[196:199], a[82:83], v[146:147], v[196:199]// 0000000203D4: D3F300C4 0F132552
	v_mfma_f32_16x16x32_fp8_fp8 v[196:199], a[84:85], v[148:149], v[196:199]// 0000000203DC: D3F300C4 0F132954
	v_mfma_f32_16x16x32_fp8_fp8 v[196:199], a[86:87], v[150:151], v[196:199]// 0000000203E4: D3F300C4 0F132D56
	v_mfma_f32_16x16x32_fp8_fp8 v[196:199], a[88:89], v[152:153], v[196:199]// 0000000203EC: D3F300C4 0F133158
	v_mfma_f32_16x16x32_fp8_fp8 v[196:199], a[90:91], v[154:155], v[196:199]// 0000000203F4: D3F300C4 0F13355A
	v_mfma_f32_16x16x32_fp8_fp8 v[196:199], a[92:93], v[156:157], v[196:199]// 0000000203FC: D3F300C4 0F13395C
	v_mfma_f32_16x16x32_fp8_fp8 v[196:199], a[94:95], v[158:159], v[196:199]// 000000020404: D3F300C4 0F133D5E
	v_mfma_f32_16x16x32_fp8_fp8 v[200:203], a[64:65], v[160:161], 0// 00000002040C: D3F300C8 0A034140
	v_mfma_f32_16x16x32_fp8_fp8 v[200:203], a[66:67], v[162:163], v[200:203]// 000000020414: D3F300C8 0F234542
	v_mfma_f32_16x16x32_fp8_fp8 v[200:203], a[68:69], v[164:165], v[200:203]// 00000002041C: D3F300C8 0F234944
	v_mfma_f32_16x16x32_fp8_fp8 v[200:203], a[70:71], v[166:167], v[200:203]// 000000020424: D3F300C8 0F234D46
	v_mfma_f32_16x16x32_fp8_fp8 v[200:203], a[72:73], v[168:169], v[200:203]// 00000002042C: D3F300C8 0F235148
	v_mfma_f32_16x16x32_fp8_fp8 v[200:203], a[74:75], v[170:171], v[200:203]// 000000020434: D3F300C8 0F23554A
	v_mfma_f32_16x16x32_fp8_fp8 v[200:203], a[76:77], v[172:173], v[200:203]// 00000002043C: D3F300C8 0F23594C
	v_mfma_f32_16x16x32_fp8_fp8 v[200:203], a[78:79], v[174:175], v[200:203]// 000000020444: D3F300C8 0F235D4E
	v_mfma_f32_16x16x32_fp8_fp8 v[204:207], a[80:81], v[160:161], 0// 00000002044C: D3F300CC 0A034150
	v_mfma_f32_16x16x32_fp8_fp8 v[204:207], a[82:83], v[162:163], v[204:207]// 000000020454: D3F300CC 0F334552
	v_mfma_f32_16x16x32_fp8_fp8 v[204:207], a[84:85], v[164:165], v[204:207]// 00000002045C: D3F300CC 0F334954
	v_mfma_f32_16x16x32_fp8_fp8 v[204:207], a[86:87], v[166:167], v[204:207]// 000000020464: D3F300CC 0F334D56
	v_mfma_f32_16x16x32_fp8_fp8 v[204:207], a[88:89], v[168:169], v[204:207]// 00000002046C: D3F300CC 0F335158
	v_mfma_f32_16x16x32_fp8_fp8 v[204:207], a[90:91], v[170:171], v[204:207]// 000000020474: D3F300CC 0F33555A
	v_mfma_f32_16x16x32_fp8_fp8 v[204:207], a[92:93], v[172:173], v[204:207]// 00000002047C: D3F300CC 0F33595C
	v_mfma_f32_16x16x32_fp8_fp8 v[204:207], a[94:95], v[174:175], v[204:207]// 000000020484: D3F300CC 0F335D5E
	v_add_u32_e32 v1, s56, v1                                  // 00000002048C: 68020238
	s_addk_i32 s70, 0x100                                      // 000000020490: B7460100
	s_cmp_lt_i32 s70, s71                                      // 000000020494: BF044746
	s_cbranch_scc0 label_82A3                                  // 000000020498: BF8409FC
	s_waitcnt vmcnt(8) lgkmcnt(0)                              // 00000002049C: BF8C0078
	v_mul_u32_u24_dpp v64, v16, v54 row_newbcast:0 row_mask:0xf bank_mask:0xf// 0000000204A0: 10806CFA FF015010
	v_mul_u32_u24_dpp v65, v16, v54 row_newbcast:4 row_mask:0xf bank_mask:0xf// 0000000204A8: 10826CFA FF015410
	v_mul_u32_u24_dpp v66, v16, v54 row_newbcast:8 row_mask:0xf bank_mask:0xf// 0000000204B0: 10846CFA FF015810
	v_mul_u32_u24_dpp v67, v16, v54 row_newbcast:12 row_mask:0xf bank_mask:0xf// 0000000204B8: 10866CFA FF015C10
	v_add_u32_e32 v22, v64, v5                                 // 0000000204C0: 682C0B40
	v_add_u32_e32 v23, v65, v5                                 // 0000000204C4: 682E0B41
	v_add_u32_e32 v24, v66, v5                                 // 0000000204C8: 68300B42
	v_add_u32_e32 v25, v67, v5                                 // 0000000204CC: 68320B43
	v_mul_u32_u24_dpp v64, v16, v63 quad_perm:[0,0,0,0] row_mask:0xf bank_mask:0xf// 0000000204D0: 10807EFA FF000010
	v_add_u32_e32 v2, v64, v59                                 // 0000000204D8: 68047740
	v_mul_u32_u24_dpp v64, v16, v63 quad_perm:[0,0,0,0] row_mask:0xf bank_mask:0xf// 0000000204DC: 10807EFA FF000010
	v_add_u32_e32 v55, v64, v60                                // 0000000204E4: 686E7940
	v_mfma_f32_16x16x32_fp8_fp8 v[112:115], a[32:33], v[80:81], 0// 0000000204E8: D3F30070 0A02A120
	v_mfma_f32_16x16x32_fp8_fp8 v[112:115], a[34:35], v[82:83], v[112:115]// 0000000204F0: D3F30070 0DC2A522
	buffer_load_dwordx4 a[0:3], v22, s[16:19], 0 offen         // 0000000204F8: E05C1000 80840016
	v_mfma_f32_16x16x32_fp8_fp8 v[112:115], a[36:37], v[84:85], v[112:115]// 000000020500: D3F30070 0DC2A924
	v_mfma_f32_16x16x32_fp8_fp8 v[112:115], a[38:39], v[86:87], v[112:115]// 000000020508: D3F30070 0DC2AD26
	buffer_load_dword v17, v1, s[24:27], 0 offen               // 000000020510: E0501000 80061101
	v_mfma_f32_16x16x32_fp8_fp8 v[116:119], a[40:41], v[80:81], 0// 000000020518: D3F30074 0A02A128
	v_mfma_f32_16x16x32_fp8_fp8 v[116:119], a[42:43], v[82:83], v[116:119]// 000000020520: D3F30074 0DD2A52A
	buffer_load_dwordx4 a[4:7], v22, s[16:19], 0 offen offset:1024// 000000020528: E05C1400 80840416
	v_mfma_f32_16x16x32_fp8_fp8 v[116:119], a[44:45], v[84:85], v[116:119]// 000000020530: D3F30074 0DD2A92C
	v_mfma_f32_16x16x32_fp8_fp8 v[116:119], a[46:47], v[86:87], v[116:119]// 000000020538: D3F30074 0DD2AD2E
	v_mfma_f32_16x16x32_fp8_fp8 v[120:123], a[48:49], v[80:81], 0// 000000020540: D3F30078 0A02A130
	v_mfma_f32_16x16x32_fp8_fp8 v[120:123], a[50:51], v[82:83], v[120:123]// 000000020548: D3F30078 0DE2A532
	buffer_load_dwordx4 a[8:11], v23, s[16:19], 0 offen        // 000000020550: E05C1000 80840817
	v_mfma_f32_16x16x32_fp8_fp8 v[120:123], a[52:53], v[84:85], v[120:123]// 000000020558: D3F30078 0DE2A934
	v_mfma_f32_16x16x32_fp8_fp8 v[120:123], a[54:55], v[86:87], v[120:123]// 000000020560: D3F30078 0DE2AD36
	v_mfma_f32_16x16x32_fp8_fp8 v[124:127], a[56:57], v[80:81], 0// 000000020568: D3F3007C 0A02A138
	v_mfma_f32_16x16x32_fp8_fp8 v[124:127], a[58:59], v[82:83], v[124:127]// 000000020570: D3F3007C 0DF2A53A
	buffer_load_dwordx4 a[12:15], v23, s[16:19], 0 offen offset:1024// 000000020578: E05C1400 80840C17
	v_mfma_f32_16x16x32_fp8_fp8 v[124:127], a[60:61], v[84:85], v[124:127]// 000000020580: D3F3007C 0DF2A93C
	v_mfma_f32_16x16x32_fp8_fp8 v[124:127], a[62:63], v[86:87], v[124:127]// 000000020588: D3F3007C 0DF2AD3E
	v_mfma_f32_16x16x32_fp8_fp8 v[128:131], a[32:33], v[88:89], 0// 000000020590: D3F30080 0A02B120
	v_mfma_f32_16x16x32_fp8_fp8 v[128:131], a[34:35], v[90:91], v[128:131]// 000000020598: D3F30080 0E02B522
	v_mfma_f32_16x16x32_fp8_fp8 v[128:131], a[36:37], v[92:93], v[128:131]// 0000000205A0: D3F30080 0E02B924
	v_mfma_f32_16x16x32_fp8_fp8 v[128:131], a[38:39], v[94:95], v[128:131]// 0000000205A8: D3F30080 0E02BD26
	v_mfma_f32_16x16x32_fp8_fp8 v[132:135], a[40:41], v[88:89], 0// 0000000205B0: D3F30084 0A02B128
	v_mfma_f32_16x16x32_fp8_fp8 v[132:135], a[42:43], v[90:91], v[132:135]// 0000000205B8: D3F30084 0E12B52A
	v_mfma_f32_16x16x32_fp8_fp8 v[132:135], a[44:45], v[92:93], v[132:135]// 0000000205C0: D3F30084 0E12B92C
	v_mfma_f32_16x16x32_fp8_fp8 v[132:135], a[46:47], v[94:95], v[132:135]// 0000000205C8: D3F30084 0E12BD2E
	v_mfma_f32_16x16x32_fp8_fp8 v[136:139], a[48:49], v[88:89], 0// 0000000205D0: D3F30088 0A02B130
	v_mfma_f32_16x16x32_fp8_fp8 v[136:139], a[50:51], v[90:91], v[136:139]// 0000000205D8: D3F30088 0E22B532
	v_mfma_f32_16x16x32_fp8_fp8 v[136:139], a[52:53], v[92:93], v[136:139]// 0000000205E0: D3F30088 0E22B934
	v_mfma_f32_16x16x32_fp8_fp8 v[136:139], a[54:55], v[94:95], v[136:139]// 0000000205E8: D3F30088 0E22BD36
	v_mfma_f32_16x16x32_fp8_fp8 v[140:143], a[56:57], v[88:89], 0// 0000000205F0: D3F3008C 0A02B138
	v_mfma_f32_16x16x32_fp8_fp8 v[140:143], a[58:59], v[90:91], v[140:143]// 0000000205F8: D3F3008C 0E32B53A
	v_mfma_f32_16x16x32_fp8_fp8 v[140:143], a[60:61], v[92:93], v[140:143]// 000000020600: D3F3008C 0E32B93C
	v_mfma_f32_16x16x32_fp8_fp8 v[140:143], a[62:63], v[94:95], v[140:143]// 000000020608: D3F3008C 0E32BD3E
	v_mfma_f32_16x16x32_fp8_fp8 v[144:147], a[32:33], v[96:97], 0// 000000020610: D3F30090 0A02C120
	v_mfma_f32_16x16x32_fp8_fp8 v[144:147], a[34:35], v[98:99], v[144:147]// 000000020618: D3F30090 0E42C522
	v_mfma_f32_16x16x32_fp8_fp8 v[144:147], a[36:37], v[100:101], v[144:147]// 000000020620: D3F30090 0E42C924
	v_mfma_f32_16x16x32_fp8_fp8 v[144:147], a[38:39], v[102:103], v[144:147]// 000000020628: D3F30090 0E42CD26
	v_mfma_f32_16x16x32_fp8_fp8 v[148:151], a[40:41], v[96:97], 0// 000000020630: D3F30094 0A02C128
	v_mfma_f32_16x16x32_fp8_fp8 v[148:151], a[42:43], v[98:99], v[148:151]// 000000020638: D3F30094 0E52C52A
	v_mfma_f32_16x16x32_fp8_fp8 v[148:151], a[44:45], v[100:101], v[148:151]// 000000020640: D3F30094 0E52C92C
	v_mfma_f32_16x16x32_fp8_fp8 v[148:151], a[46:47], v[102:103], v[148:151]// 000000020648: D3F30094 0E52CD2E
	v_mfma_f32_16x16x32_fp8_fp8 v[152:155], a[48:49], v[96:97], 0// 000000020650: D3F30098 0A02C130
	v_mfma_f32_16x16x32_fp8_fp8 v[152:155], a[50:51], v[98:99], v[152:155]// 000000020658: D3F30098 0E62C532
	v_mfma_f32_16x16x32_fp8_fp8 v[152:155], a[52:53], v[100:101], v[152:155]// 000000020660: D3F30098 0E62C934
	v_mfma_f32_16x16x32_fp8_fp8 v[152:155], a[54:55], v[102:103], v[152:155]// 000000020668: D3F30098 0E62CD36
	v_mfma_f32_16x16x32_fp8_fp8 v[156:159], a[56:57], v[96:97], 0// 000000020670: D3F3009C 0A02C138
	v_mfma_f32_16x16x32_fp8_fp8 v[156:159], a[58:59], v[98:99], v[156:159]// 000000020678: D3F3009C 0E72C53A
	v_mfma_f32_16x16x32_fp8_fp8 v[156:159], a[60:61], v[100:101], v[156:159]// 000000020680: D3F3009C 0E72C93C
	v_mfma_f32_16x16x32_fp8_fp8 v[156:159], a[62:63], v[102:103], v[156:159]// 000000020688: D3F3009C 0E72CD3E
	v_mfma_f32_16x16x32_fp8_fp8 v[160:163], a[32:33], v[104:105], 0// 000000020690: D3F300A0 0A02D120
	v_mfma_f32_16x16x32_fp8_fp8 v[160:163], a[34:35], v[106:107], v[160:163]// 000000020698: D3F300A0 0E82D522
	v_mfma_f32_16x16x32_fp8_fp8 v[160:163], a[36:37], v[108:109], v[160:163]// 0000000206A0: D3F300A0 0E82D924
	v_mfma_f32_16x16x32_fp8_fp8 v[160:163], a[38:39], v[110:111], v[160:163]// 0000000206A8: D3F300A0 0E82DD26
	v_mfma_f32_16x16x32_fp8_fp8 v[164:167], a[40:41], v[104:105], 0// 0000000206B0: D3F300A4 0A02D128
	v_mfma_f32_16x16x32_fp8_fp8 v[164:167], a[42:43], v[106:107], v[164:167]// 0000000206B8: D3F300A4 0E92D52A
	v_mfma_f32_16x16x32_fp8_fp8 v[164:167], a[44:45], v[108:109], v[164:167]// 0000000206C0: D3F300A4 0E92D92C
	v_mfma_f32_16x16x32_fp8_fp8 v[164:167], a[46:47], v[110:111], v[164:167]// 0000000206C8: D3F300A4 0E92DD2E
	v_mfma_f32_16x16x32_fp8_fp8 v[168:171], a[48:49], v[104:105], 0// 0000000206D0: D3F300A8 0A02D130
	v_mfma_f32_16x16x32_fp8_fp8 v[168:171], a[50:51], v[106:107], v[168:171]// 0000000206D8: D3F300A8 0EA2D532
	v_mfma_f32_16x16x32_fp8_fp8 v[168:171], a[52:53], v[108:109], v[168:171]// 0000000206E0: D3F300A8 0EA2D934
	v_mfma_f32_16x16x32_fp8_fp8 v[168:171], a[54:55], v[110:111], v[168:171]// 0000000206E8: D3F300A8 0EA2DD36
	v_mfma_f32_16x16x32_fp8_fp8 v[172:175], a[56:57], v[104:105], 0// 0000000206F0: D3F300AC 0A02D138
	v_mfma_f32_16x16x32_fp8_fp8 v[172:175], a[58:59], v[106:107], v[172:175]// 0000000206F8: D3F300AC 0EB2D53A
	v_mfma_f32_16x16x32_fp8_fp8 v[172:175], a[60:61], v[108:109], v[172:175]// 000000020700: D3F300AC 0EB2D93C
	v_mfma_f32_16x16x32_fp8_fp8 v[172:175], a[62:63], v[110:111], v[172:175]// 000000020708: D3F300AC 0EB2DD3E
	buffer_load_dword v42, v2, s[32:35], 0 offen               // 000000020710: E0501000 80082A02
	v_mov_b32_dpp v64, v43 row_shr:4 row_mask:0xf bank_mask:0xf// 000000020718: 7E8002FA FF01142B
	v_mov_b32_dpp v65, v43 row_shl:4 row_mask:0xf bank_mask:0xf// 000000020720: 7E8202FA FF01042B
	v_cndmask_b32_e64 v248, v43, v64, s[44:45]                 // 000000020728: D10000F8 00B2812B
	v_cndmask_b32_e64 v249, v65, v43, s[44:45]                 // 000000020730: D10000F9 00B25741
	v_mov_b32_dpp v64, v248 row_shr:8 row_mask:0xf bank_mask:0xf// 000000020738: 7E8002FA FF0118F8
	v_mov_b32_dpp v65, v248 row_shl:8 row_mask:0xf bank_mask:0xf// 000000020740: 7E8202FA FF0108F8
	v_mov_b32_dpp v66, v249 row_shr:8 row_mask:0xf bank_mask:0xf// 000000020748: 7E8402FA FF0118F9
	v_mov_b32_dpp v67, v249 row_shl:8 row_mask:0xf bank_mask:0xf// 000000020750: 7E8602FA FF0108F9
	v_mov_b32_e32 v68, v248                                    // 000000020758: 7E8803F8
	v_mov_b32_e32 v69, v249                                    // 00000002075C: 7E8A03F9
	v_cndmask_b32_e64 v248, v68, v64, s[42:43]                 // 000000020760: D10000F8 00AA8144
	v_cndmask_b32_e64 v250, v68, v65, s[78:79]                 // 000000020768: D10000FA 013A8344
	v_cndmask_b32_e64 v249, v69, v66, s[42:43]                 // 000000020770: D10000F9 00AA8545
	v_cndmask_b32_e64 v251, v69, v67, s[78:79]                 // 000000020778: D10000FB 013A8745
	v_mov_b32_dpp v64, v58 row_shr:4 row_mask:0xf bank_mask:0xf// 000000020780: 7E8002FA FF01143A
	v_mov_b32_dpp v65, v58 row_shl:4 row_mask:0xf bank_mask:0xf// 000000020788: 7E8202FA FF01043A
	v_cndmask_b32_e64 v252, v58, v64, s[44:45]                 // 000000020790: D10000FC 00B2813A
	v_cndmask_b32_e64 v253, v65, v58, s[44:45]                 // 000000020798: D10000FD 00B27541
	v_mov_b32_dpp v64, v252 row_shr:8 row_mask:0xf bank_mask:0xf// 0000000207A0: 7E8002FA FF0118FC
	v_mov_b32_dpp v65, v252 row_shl:8 row_mask:0xf bank_mask:0xf// 0000000207A8: 7E8202FA FF0108FC
	v_mov_b32_dpp v66, v253 row_shr:8 row_mask:0xf bank_mask:0xf// 0000000207B0: 7E8402FA FF0118FD
	v_mov_b32_dpp v67, v253 row_shl:8 row_mask:0xf bank_mask:0xf// 0000000207B8: 7E8602FA FF0108FD
	v_mov_b32_e32 v68, v252                                    // 0000000207C0: 7E8803FC
	v_mov_b32_e32 v69, v253                                    // 0000000207C4: 7E8A03FD
	v_cndmask_b32_e64 v252, v68, v64, s[42:43]                 // 0000000207C8: D10000FC 00AA8144
	v_cndmask_b32_e64 v254, v68, v65, s[78:79]                 // 0000000207D0: D10000FE 013A8344
	v_cndmask_b32_e64 v253, v69, v66, s[42:43]                 // 0000000207D8: D10000FD 00AA8545
	v_cndmask_b32_e64 v255, v69, v67, s[78:79]                 // 0000000207E0: D10000FF 013A8745
	buffer_load_dword v57, v55, s[36:39], 0 offen              // 0000000207E8: E0501000 80093937
	v_mul_f32_e32 v112, v18, v112                              // 0000000207F0: 0AE0E112
	v_mul_f32_e32 v113, v18, v113                              // 0000000207F4: 0AE2E312
	v_mul_f32_e32 v114, v18, v114                              // 0000000207F8: 0AE4E512
	v_mul_f32_e32 v115, v18, v115                              // 0000000207FC: 0AE6E712
	v_mul_f32_e32 v116, v18, v116                              // 000000020800: 0AE8E912
	v_mul_f32_e32 v117, v18, v117                              // 000000020804: 0AEAEB12
	v_mul_f32_e32 v118, v18, v118                              // 000000020808: 0AECED12
	v_mul_f32_e32 v119, v18, v119                              // 00000002080C: 0AEEEF12
	v_mul_f32_e32 v120, v18, v120                              // 000000020810: 0AF0F112
	v_mul_f32_e32 v121, v18, v121                              // 000000020814: 0AF2F312
	v_mul_f32_e32 v122, v18, v122                              // 000000020818: 0AF4F512
	v_mul_f32_e32 v123, v18, v123                              // 00000002081C: 0AF6F712
	v_mul_f32_e32 v124, v18, v124                              // 000000020820: 0AF8F912
	v_mul_f32_e32 v125, v18, v125                              // 000000020824: 0AFAFB12
	v_mul_f32_e32 v126, v18, v126                              // 000000020828: 0AFCFD12
	v_mul_f32_e32 v127, v18, v127                              // 00000002082C: 0AFEFF12
	buffer_load_dwordx4 a[16:19], v24, s[16:19], 0 offen       // 000000020830: E05C1000 80841018
	v_mul_f32_dpp v112, v248, v112 quad_perm:[0,0,0,0] row_mask:0xf bank_mask:0xf// 000000020838: 0AE0E0FA FF0000F8
	v_mul_f32_dpp v113, v248, v113 quad_perm:[1,1,1,1] row_mask:0xf bank_mask:0xf// 000000020840: 0AE2E2FA FF0055F8
	v_mul_f32_dpp v114, v248, v114 quad_perm:[2,2,2,2] row_mask:0xf bank_mask:0xf// 000000020848: 0AE4E4FA FF00AAF8
	v_mul_f32_dpp v115, v248, v115 quad_perm:[3,3,3,3] row_mask:0xf bank_mask:0xf// 000000020850: 0AE6E6FA FF00FFF8
	v_mul_f32_dpp v116, v249, v116 quad_perm:[0,0,0,0] row_mask:0xf bank_mask:0xf// 000000020858: 0AE8E8FA FF0000F9
	v_mul_f32_dpp v117, v249, v117 quad_perm:[1,1,1,1] row_mask:0xf bank_mask:0xf// 000000020860: 0AEAEAFA FF0055F9
	v_mul_f32_dpp v118, v249, v118 quad_perm:[2,2,2,2] row_mask:0xf bank_mask:0xf// 000000020868: 0AECECFA FF00AAF9
	v_mul_f32_dpp v119, v249, v119 quad_perm:[3,3,3,3] row_mask:0xf bank_mask:0xf// 000000020870: 0AEEEEFA FF00FFF9
	v_mul_f32_dpp v120, v250, v120 quad_perm:[0,0,0,0] row_mask:0xf bank_mask:0xf// 000000020878: 0AF0F0FA FF0000FA
	v_mul_f32_dpp v121, v250, v121 quad_perm:[1,1,1,1] row_mask:0xf bank_mask:0xf// 000000020880: 0AF2F2FA FF0055FA
	v_mul_f32_dpp v122, v250, v122 quad_perm:[2,2,2,2] row_mask:0xf bank_mask:0xf// 000000020888: 0AF4F4FA FF00AAFA
	v_mul_f32_dpp v123, v250, v123 quad_perm:[3,3,3,3] row_mask:0xf bank_mask:0xf// 000000020890: 0AF6F6FA FF00FFFA
	v_mul_f32_dpp v124, v251, v124 quad_perm:[0,0,0,0] row_mask:0xf bank_mask:0xf// 000000020898: 0AF8F8FA FF0000FB
	v_mul_f32_dpp v125, v251, v125 quad_perm:[1,1,1,1] row_mask:0xf bank_mask:0xf// 0000000208A0: 0AFAFAFA FF0055FB
	v_mul_f32_dpp v126, v251, v126 quad_perm:[2,2,2,2] row_mask:0xf bank_mask:0xf// 0000000208A8: 0AFCFCFA FF00AAFB
	v_mul_f32_dpp v127, v251, v127 quad_perm:[3,3,3,3] row_mask:0xf bank_mask:0xf// 0000000208B0: 0AFEFEFA FF00FFFB
	buffer_load_dwordx4 a[20:23], v24, s[16:19], 0 offen offset:1024// 0000000208B8: E05C1400 80841418
	s_cmp_le_i32 s90, s89                                      // 0000000208C0: BF05595A
	s_cbranch_scc1 label_7A23                                  // 0000000208C4: BF850071
	v_mov_b32_e32 v66, 0xff800000                              // 0000000208C8: 7E8402FF FF800000
	s_mov_b32 s60, s90                                         // 0000000208D0: BEBC005A
	s_add_u32 s61, s89, 0xff                                   // 0000000208D4: 803DFF59 000000FF
	v_mov_b32_e32 v64, s61                                     // 0000000208DC: 7E80023D
	v_lshrrev_b32_e32 v240, 4, v0                              // 0000000208E0: 21E00084
	v_mul_i32_i24_e32 v240, 4, v240                            // 0000000208E4: 0DE1E084
	v_add_u32_e32 v240, s60, v240                              // 0000000208E8: 69E1E03C
	s_mov_b32 s61, 0                                           // 0000000208EC: BEBD0080
	s_mul_i32 s60, 16, s7                                      // 0000000208F0: 923C0790
	v_sub_u32_e64 v240, v240, s61                              // 0000000208F4: D13500F0 00007BF0
	v_add_u32_e32 v240, s60, v240                              // 0000000208FC: 69E1E03C
	v_add_u32_e32 v241, 1, v240                                // 000000020900: 69E3E081
	v_add_u32_e32 v242, 2, v240                                // 000000020904: 69E5E082
	v_add_u32_e32 v243, 3, v240                                // 000000020908: 69E7E083
	v_cmp_le_u32_e64 s[40:41], v240, v64                       // 00000002090C: D0CB0028 000281F0
	v_add_u32_e32 v240, 64, v240                               // 000000020914: 69E1E0C0
	s_nop 0                                                    // 000000020918: BF800000
	v_cndmask_b32_e64 v112, v66, v112, s[40:41]                // 00000002091C: D1000070 00A2E142
	v_cmp_le_u32_e64 s[40:41], v241, v64                       // 000000020924: D0CB0028 000281F1
	v_add_u32_e32 v241, 64, v241                               // 00000002092C: 69E3E2C0
	s_nop 0                                                    // 000000020930: BF800000
	v_cndmask_b32_e64 v113, v66, v113, s[40:41]                // 000000020934: D1000071 00A2E342
	v_cmp_le_u32_e64 s[40:41], v242, v64                       // 00000002093C: D0CB0028 000281F2
	v_add_u32_e32 v242, 64, v242                               // 000000020944: 69E5E4C0
	s_nop 0                                                    // 000000020948: BF800000
	v_cndmask_b32_e64 v114, v66, v114, s[40:41]                // 00000002094C: D1000072 00A2E542
	v_cmp_le_u32_e64 s[40:41], v243, v64                       // 000000020954: D0CB0028 000281F3
	v_add_u32_e32 v243, 64, v243                               // 00000002095C: 69E7E6C0
	s_nop 0                                                    // 000000020960: BF800000
	v_cndmask_b32_e64 v115, v66, v115, s[40:41]                // 000000020964: D1000073 00A2E742
	v_cmp_le_u32_e64 s[40:41], v240, v64                       // 00000002096C: D0CB0028 000281F0
	v_add_u32_e32 v240, 64, v240                               // 000000020974: 69E1E0C0
	s_nop 0                                                    // 000000020978: BF800000
	v_cndmask_b32_e64 v116, v66, v116, s[40:41]                // 00000002097C: D1000074 00A2E942
	v_cmp_le_u32_e64 s[40:41], v241, v64                       // 000000020984: D0CB0028 000281F1
	v_add_u32_e32 v241, 64, v241                               // 00000002098C: 69E3E2C0
	s_nop 0                                                    // 000000020990: BF800000
	v_cndmask_b32_e64 v117, v66, v117, s[40:41]                // 000000020994: D1000075 00A2EB42
	v_cmp_le_u32_e64 s[40:41], v242, v64                       // 00000002099C: D0CB0028 000281F2
	v_add_u32_e32 v242, 64, v242                               // 0000000209A4: 69E5E4C0
	s_nop 0                                                    // 0000000209A8: BF800000
	v_cndmask_b32_e64 v118, v66, v118, s[40:41]                // 0000000209AC: D1000076 00A2ED42
	v_cmp_le_u32_e64 s[40:41], v243, v64                       // 0000000209B4: D0CB0028 000281F3
	v_add_u32_e32 v243, 64, v243                               // 0000000209BC: 69E7E6C0
	s_nop 0                                                    // 0000000209C0: BF800000
	v_cndmask_b32_e64 v119, v66, v119, s[40:41]                // 0000000209C4: D1000077 00A2EF42
	v_cmp_le_u32_e64 s[40:41], v240, v64                       // 0000000209CC: D0CB0028 000281F0
	v_add_u32_e32 v240, 64, v240                               // 0000000209D4: 69E1E0C0
	s_nop 0                                                    // 0000000209D8: BF800000
	v_cndmask_b32_e64 v120, v66, v120, s[40:41]                // 0000000209DC: D1000078 00A2F142
	v_cmp_le_u32_e64 s[40:41], v241, v64                       // 0000000209E4: D0CB0028 000281F1
	v_add_u32_e32 v241, 64, v241                               // 0000000209EC: 69E3E2C0
	s_nop 0                                                    // 0000000209F0: BF800000
	v_cndmask_b32_e64 v121, v66, v121, s[40:41]                // 0000000209F4: D1000079 00A2F342
	v_cmp_le_u32_e64 s[40:41], v242, v64                       // 0000000209FC: D0CB0028 000281F2
	v_add_u32_e32 v242, 64, v242                               // 000000020A04: 69E5E4C0
	s_nop 0                                                    // 000000020A08: BF800000
	v_cndmask_b32_e64 v122, v66, v122, s[40:41]                // 000000020A0C: D100007A 00A2F542
	v_cmp_le_u32_e64 s[40:41], v243, v64                       // 000000020A14: D0CB0028 000281F3
	v_add_u32_e32 v243, 64, v243                               // 000000020A1C: 69E7E6C0
	s_nop 0                                                    // 000000020A20: BF800000
	v_cndmask_b32_e64 v123, v66, v123, s[40:41]                // 000000020A24: D100007B 00A2F742
	v_cmp_le_u32_e64 s[40:41], v240, v64                       // 000000020A2C: D0CB0028 000281F0
	v_add_u32_e32 v240, 64, v240                               // 000000020A34: 69E1E0C0
	s_nop 0                                                    // 000000020A38: BF800000
	v_cndmask_b32_e64 v124, v66, v124, s[40:41]                // 000000020A3C: D100007C 00A2F942
	v_cmp_le_u32_e64 s[40:41], v241, v64                       // 000000020A44: D0CB0028 000281F1
	v_add_u32_e32 v241, 64, v241                               // 000000020A4C: 69E3E2C0
	s_nop 0                                                    // 000000020A50: BF800000
	v_cndmask_b32_e64 v125, v66, v125, s[40:41]                // 000000020A54: D100007D 00A2FB42
	v_cmp_le_u32_e64 s[40:41], v242, v64                       // 000000020A5C: D0CB0028 000281F2
	v_add_u32_e32 v242, 64, v242                               // 000000020A64: 69E5E4C0
	s_nop 0                                                    // 000000020A68: BF800000
	v_cndmask_b32_e64 v126, v66, v126, s[40:41]                // 000000020A6C: D100007E 00A2FD42
	v_cmp_le_u32_e64 s[40:41], v243, v64                       // 000000020A74: D0CB0028 000281F3
	v_add_u32_e32 v243, 64, v243                               // 000000020A7C: 69E7E6C0
	s_nop 0                                                    // 000000020A80: BF800000
	v_cndmask_b32_e64 v127, v66, v127, s[40:41]                // 000000020A84: D100007F 00A2FF42

0000000000020a8c <label_7A23>:
	v_mov_b32_e32 v48, v112                                    // 000000020A8C: 7E600370
	v_max3_f32 v48, v112, v113, v48                            // 000000020A90: D1D30030 04C2E370
	v_max3_f32 v48, v114, v115, v48                            // 000000020A98: D1D30030 04C2E772
	v_max3_f32 v48, v116, v117, v48                            // 000000020AA0: D1D30030 04C2EB74
	v_max3_f32 v48, v118, v119, v48                            // 000000020AA8: D1D30030 04C2EF76
	v_max3_f32 v48, v120, v121, v48                            // 000000020AB0: D1D30030 04C2F378
	v_max3_f32 v48, v122, v123, v48                            // 000000020AB8: D1D30030 04C2F77A
	v_max3_f32 v48, v124, v125, v48                            // 000000020AC0: D1D30030 04C2FB7C
	v_max3_f32 v48, v126, v127, v48                            // 000000020AC8: D1D30030 04C2FF7E
	ds_write_b32 v8, v48 offset:16896                          // 000000020AD0: D81A4200 00003008
	buffer_load_dwordx4 a[24:27], v25, s[16:19], 0 offen       // 000000020AD8: E05C1000 80841819
	v_mul_u32_u24_dpp v64, v16, v54 row_newbcast:1 row_mask:0xf bank_mask:0xf// 000000020AE0: 10806CFA FF015110
	v_mul_u32_u24_dpp v65, v16, v54 row_newbcast:5 row_mask:0xf bank_mask:0xf// 000000020AE8: 10826CFA FF015510
	v_mul_u32_u24_dpp v66, v16, v54 row_newbcast:9 row_mask:0xf bank_mask:0xf// 000000020AF0: 10846CFA FF015910
	v_mul_u32_u24_dpp v67, v16, v54 row_newbcast:13 row_mask:0xf bank_mask:0xf// 000000020AF8: 10866CFA FF015D10
	v_add_u32_e32 v30, v64, v6                                 // 000000020B00: 683C0D40
	v_add_u32_e32 v31, v65, v6                                 // 000000020B04: 683E0D41
	v_add_u32_e32 v32, v66, v6                                 // 000000020B08: 68400D42
	v_add_u32_e32 v33, v67, v6                                 // 000000020B0C: 68420D43
	v_mul_f32_e32 v208, v49, v208                              // 000000020B10: 0BA1A131
	v_mul_f32_e32 v209, v49, v209                              // 000000020B14: 0BA3A331
	v_mul_f32_e32 v210, v49, v210                              // 000000020B18: 0BA5A531
	v_mul_f32_e32 v211, v49, v211                              // 000000020B1C: 0BA7A731
	v_mul_f32_e32 v212, v49, v212                              // 000000020B20: 0BA9A931
	v_mul_f32_e32 v213, v49, v213                              // 000000020B24: 0BABAB31
	v_mul_f32_e32 v214, v49, v214                              // 000000020B28: 0BADAD31
	v_mul_f32_e32 v215, v49, v215                              // 000000020B2C: 0BAFAF31
	s_waitcnt lgkmcnt(0)                                       // 000000020B30: BF8CC07F
	s_barrier                                                  // 000000020B34: BF8A0000
	ds_read_b32 v64, v7 offset:16896                           // 000000020B38: D86C4200 40000007
	ds_read_b32 v65, v7 offset:16960                           // 000000020B40: D86C4240 41000007
	ds_read_b32 v66, v7 offset:17024                           // 000000020B48: D86C4280 42000007
	ds_read_b32 v67, v7 offset:17088                           // 000000020B50: D86C42C0 43000007
	ds_read_b32 v68, v7 offset:17152                           // 000000020B58: D86C4300 44000007
	ds_read_b32 v69, v7 offset:17216                           // 000000020B60: D86C4340 45000007
	ds_read_b32 v70, v7 offset:17280                           // 000000020B68: D86C4380 46000007
	ds_read_b32 v71, v7 offset:17344                           // 000000020B70: D86C43C0 47000007
	ds_read_b32 v72, v7 offset:17408                           // 000000020B78: D86C4400 48000007
	ds_read_b32 v73, v7 offset:17472                           // 000000020B80: D86C4440 49000007
	ds_read_b32 v74, v7 offset:17536                           // 000000020B88: D86C4480 4A000007
	ds_read_b32 v75, v7 offset:17600                           // 000000020B90: D86C44C0 4B000007
	ds_read_b32 v76, v7 offset:17664                           // 000000020B98: D86C4500 4C000007
	ds_read_b32 v77, v7 offset:17728                           // 000000020BA0: D86C4540 4D000007
	ds_read_b32 v78, v7 offset:17792                           // 000000020BA8: D86C4580 4E000007
	ds_read_b32 v79, v7 offset:17856                           // 000000020BB0: D86C45C0 4F000007
	buffer_load_dwordx4 a[28:31], v25, s[16:19], 0 offen offset:1024// 000000020BB8: E05C1400 80841C19
	v_mul_f32_e32 v176, v44, v176                              // 000000020BC0: 0B61612C
	v_mul_f32_e32 v177, v44, v177                              // 000000020BC4: 0B63632C
	v_mul_f32_e32 v178, v44, v178                              // 000000020BC8: 0B65652C
	v_mul_f32_e32 v179, v44, v179                              // 000000020BCC: 0B67672C
	v_mul_f32_e32 v180, v44, v180                              // 000000020BD0: 0B69692C
	v_mul_f32_e32 v181, v44, v181                              // 000000020BD4: 0B6B6B2C
	v_mul_f32_e32 v182, v44, v182                              // 000000020BD8: 0B6D6D2C
	v_mul_f32_e32 v183, v44, v183                              // 000000020BDC: 0B6F6F2C
	s_waitcnt lgkmcnt(0)                                       // 000000020BE0: BF8CC07F
	v_max3_f32 v48, v64, v65, v48                              // 000000020BE4: D1D30030 04C28340
	v_max3_f32 v48, v66, v67, v48                              // 000000020BEC: D1D30030 04C28742
	v_max3_f32 v48, v68, v69, v48                              // 000000020BF4: D1D30030 04C28B44
	v_max3_f32 v48, v70, v71, v48                              // 000000020BFC: D1D30030 04C28F46
	v_max3_f32 v48, v72, v73, v48                              // 000000020C04: D1D30030 04C29348
	v_max3_f32 v48, v74, v75, v48                              // 000000020C0C: D1D30030 04C2974A
	v_max3_f32 v48, v76, v77, v48                              // 000000020C14: D1D30030 04C29B4C
	v_max3_f32 v48, v78, v79, v48                              // 000000020C1C: D1D30030 04C29F4E
	buffer_load_dwordx4 a[64:67], v30, s[20:23], 0 offen       // 000000020C24: E05C1000 8085401E
	v_mov_b32_e32 v64, 0xff800000                              // 000000020C2C: 7E8002FF FF800000
	v_cmp_eq_u32_e64 s[40:41], v64, v11                        // 000000020C34: D0CA0028 00021740
	s_nop 1                                                    // 000000020C3C: BF800001
	v_max_f32_e32 v15, v48, v11                                // 000000020C40: 161E1730
	v_mul_f32_e32 v53, s64, v15                                // 000000020C44: 0A6A1E40
	v_fma_f32 v112, v112, s64, -v53                            // 000000020C48: D1CB0070 84D48170
	v_fma_f32 v113, v113, s64, -v53                            // 000000020C50: D1CB0071 84D48171
	v_fma_f32 v114, v114, s64, -v53                            // 000000020C58: D1CB0072 84D48172
	v_fma_f32 v115, v115, s64, -v53                            // 000000020C60: D1CB0073 84D48173
	v_fma_f32 v116, v116, s64, -v53                            // 000000020C68: D1CB0074 84D48174
	v_fma_f32 v117, v117, s64, -v53                            // 000000020C70: D1CB0075 84D48175
	v_fma_f32 v118, v118, s64, -v53                            // 000000020C78: D1CB0076 84D48176
	v_fma_f32 v119, v119, s64, -v53                            // 000000020C80: D1CB0077 84D48177
	v_fma_f32 v120, v120, s64, -v53                            // 000000020C88: D1CB0078 84D48178
	v_fma_f32 v121, v121, s64, -v53                            // 000000020C90: D1CB0079 84D48179
	v_fma_f32 v122, v122, s64, -v53                            // 000000020C98: D1CB007A 84D4817A
	v_fma_f32 v123, v123, s64, -v53                            // 000000020CA0: D1CB007B 84D4817B
	v_fma_f32 v124, v124, s64, -v53                            // 000000020CA8: D1CB007C 84D4817C
	v_fma_f32 v125, v125, s64, -v53                            // 000000020CB0: D1CB007D 84D4817D
	v_fma_f32 v126, v126, s64, -v53                            // 000000020CB8: D1CB007E 84D4817E
	v_fma_f32 v127, v127, s64, -v53                            // 000000020CC0: D1CB007F 84D4817F
	buffer_load_dwordx4 a[68:71], v31, s[20:23], 0 offen       // 000000020CC8: E05C1000 8085441F
	v_exp_f32_e32 v112, v112                                   // 000000020CD0: 7EE04170
	v_exp_f32_e32 v113, v113                                   // 000000020CD4: 7EE24171
	v_exp_f32_e32 v114, v114                                   // 000000020CD8: 7EE44172
	v_exp_f32_e32 v115, v115                                   // 000000020CDC: 7EE64173
	v_exp_f32_e32 v116, v116                                   // 000000020CE0: 7EE84174
	v_exp_f32_e32 v117, v117                                   // 000000020CE4: 7EEA4175
	v_exp_f32_e32 v118, v118                                   // 000000020CE8: 7EEC4176
	v_exp_f32_e32 v119, v119                                   // 000000020CEC: 7EEE4177
	v_exp_f32_e32 v120, v120                                   // 000000020CF0: 7EF04178
	v_exp_f32_e32 v121, v121                                   // 000000020CF4: 7EF24179
	v_exp_f32_e32 v122, v122                                   // 000000020CF8: 7EF4417A
	v_exp_f32_e32 v123, v123                                   // 000000020CFC: 7EF6417B
	v_exp_f32_e32 v124, v124                                   // 000000020D00: 7EF8417C
	v_exp_f32_e32 v125, v125                                   // 000000020D04: 7EFA417D
	v_exp_f32_e32 v126, v126                                   // 000000020D08: 7EFC417E
	v_exp_f32_e32 v127, v127                                   // 000000020D0C: 7EFE417F
	buffer_load_dwordx4 a[72:75], v32, s[20:23], 0 offen       // 000000020D10: E05C1000 80854820
	v_mul_f32_dpp v240, v252, v112 quad_perm:[0,0,0,0] row_mask:0xf bank_mask:0xf// 000000020D18: 0BE0E0FA FF0000FC
	v_mul_f32_dpp v241, v252, v113 quad_perm:[1,1,1,1] row_mask:0xf bank_mask:0xf// 000000020D20: 0BE2E2FA FF0055FC
	v_mul_f32_dpp v242, v252, v114 quad_perm:[2,2,2,2] row_mask:0xf bank_mask:0xf// 000000020D28: 0BE4E4FA FF00AAFC
	v_mul_f32_dpp v243, v252, v115 quad_perm:[3,3,3,3] row_mask:0xf bank_mask:0xf// 000000020D30: 0BE6E6FA FF00FFFC
	v_mul_f32_dpp v244, v253, v116 quad_perm:[0,0,0,0] row_mask:0xf bank_mask:0xf// 000000020D38: 0BE8E8FA FF0000FD
	v_mul_f32_dpp v245, v253, v117 quad_perm:[1,1,1,1] row_mask:0xf bank_mask:0xf// 000000020D40: 0BEAEAFA FF0055FD
	v_mul_f32_dpp v246, v253, v118 quad_perm:[2,2,2,2] row_mask:0xf bank_mask:0xf// 000000020D48: 0BECECFA FF00AAFD
	v_mul_f32_dpp v247, v253, v119 quad_perm:[3,3,3,3] row_mask:0xf bank_mask:0xf// 000000020D50: 0BEEEEFA FF00FFFD
	v_mul_f32_dpp v248, v254, v120 quad_perm:[0,0,0,0] row_mask:0xf bank_mask:0xf// 000000020D58: 0BF0F0FA FF0000FE
	v_mul_f32_dpp v249, v254, v121 quad_perm:[1,1,1,1] row_mask:0xf bank_mask:0xf// 000000020D60: 0BF2F2FA FF0055FE
	v_mul_f32_dpp v250, v254, v122 quad_perm:[2,2,2,2] row_mask:0xf bank_mask:0xf// 000000020D68: 0BF4F4FA FF00AAFE
	v_mul_f32_dpp v251, v254, v123 quad_perm:[3,3,3,3] row_mask:0xf bank_mask:0xf// 000000020D70: 0BF6F6FA FF00FFFE
	v_mul_f32_dpp v252, v255, v124 quad_perm:[0,0,0,0] row_mask:0xf bank_mask:0xf// 000000020D78: 0BF8F8FA FF0000FF
	v_mul_f32_dpp v253, v255, v125 quad_perm:[1,1,1,1] row_mask:0xf bank_mask:0xf// 000000020D80: 0BFAFAFA FF0055FF
	v_mul_f32_dpp v254, v255, v126 quad_perm:[2,2,2,2] row_mask:0xf bank_mask:0xf// 000000020D88: 0BFCFCFA FF00AAFF
	v_mul_f32_dpp v255, v255, v127 quad_perm:[3,3,3,3] row_mask:0xf bank_mask:0xf// 000000020D90: 0BFEFEFA FF00FFFF
	v_mov_b32_e32 v48, 0x358637bd                              // 000000020D98: 7E6002FF 358637BD
	v_max3_f32 v48, |v240|, |v241|, v48                        // 000000020DA0: D1D30330 04C3E3F0
	v_max3_f32 v48, |v242|, |v243|, v48                        // 000000020DA8: D1D30330 04C3E7F2
	v_max3_f32 v48, |v244|, |v245|, v48                        // 000000020DB0: D1D30330 04C3EBF4
	v_max3_f32 v48, |v246|, |v247|, v48                        // 000000020DB8: D1D30330 04C3EFF6
	v_max3_f32 v48, |v248|, |v249|, v48                        // 000000020DC0: D1D30330 04C3F3F8
	v_max3_f32 v48, |v250|, |v251|, v48                        // 000000020DC8: D1D30330 04C3F7FA
	v_max3_f32 v48, |v252|, |v253|, v48                        // 000000020DD0: D1D30330 04C3FBFC
	v_max3_f32 v48, |v254|, |v255|, v48                        // 000000020DD8: D1D30330 04C3FFFE
	buffer_load_dwordx4 a[76:79], v33, s[20:23], 0 offen       // 000000020DE0: E05C1000 80854C21
	ds_write_b32 v8, v48 offset:20992                          // 000000020DE8: D81A5200 00003008
	v_sub_f32_e32 v49, v11, v15                                // 000000020DF0: 04621F0B
	v_cndmask_b32_e64 v49, v49, 0, s[40:41]                    // 000000020DF4: D1000031 00A10131
	v_mov_b32_e32 v11, v15                                     // 000000020DFC: 7E16030F
	v_mul_f32_e32 v49, s64, v49                                // 000000020E00: 0A626240
	v_exp_f32_e32 v49, v49                                     // 000000020E04: 7E624131
	s_waitcnt lgkmcnt(0)                                       // 000000020E08: BF8CC07F
	s_barrier                                                  // 000000020E0C: BF8A0000
	ds_read_b32 v64, v7 offset:20992                           // 000000020E10: D86C5200 40000007
	ds_read_b32 v65, v7 offset:21056                           // 000000020E18: D86C5240 41000007
	ds_read_b32 v66, v7 offset:21120                           // 000000020E20: D86C5280 42000007
	ds_read_b32 v67, v7 offset:21184                           // 000000020E28: D86C52C0 43000007
	ds_read_b32 v68, v7 offset:21248                           // 000000020E30: D86C5300 44000007
	ds_read_b32 v69, v7 offset:21312                           // 000000020E38: D86C5340 45000007
	ds_read_b32 v70, v7 offset:21376                           // 000000020E40: D86C5380 46000007
	ds_read_b32 v71, v7 offset:21440                           // 000000020E48: D86C53C0 47000007
	ds_read_b32 v72, v7 offset:21504                           // 000000020E50: D86C5400 48000007
	ds_read_b32 v73, v7 offset:21568                           // 000000020E58: D86C5440 49000007
	ds_read_b32 v74, v7 offset:21632                           // 000000020E60: D86C5480 4A000007
	ds_read_b32 v75, v7 offset:21696                           // 000000020E68: D86C54C0 4B000007
	ds_read_b32 v76, v7 offset:21760                           // 000000020E70: D86C5500 4C000007
	ds_read_b32 v77, v7 offset:21824                           // 000000020E78: D86C5540 4D000007
	ds_read_b32 v78, v7 offset:21888                           // 000000020E80: D86C5580 4E000007
	ds_read_b32 v79, v7 offset:21952                           // 000000020E88: D86C55C0 4F000007
	v_mul_f32_e32 v38, v49, v38                                // 000000020E90: 0A4C4D31
	v_mov_b32_e32 v15, v112                                    // 000000020E94: 7E1E0370
	v_add_f32_e32 v15, v113, v15                               // 000000020E98: 021E1F71
	v_add_f32_e32 v15, v114, v15                               // 000000020E9C: 021E1F72
	v_add_f32_e32 v15, v115, v15                               // 000000020EA0: 021E1F73
	v_add_f32_e32 v15, v116, v15                               // 000000020EA4: 021E1F74
	v_add_f32_e32 v15, v117, v15                               // 000000020EA8: 021E1F75
	v_add_f32_e32 v15, v118, v15                               // 000000020EAC: 021E1F76
	v_add_f32_e32 v15, v119, v15                               // 000000020EB0: 021E1F77
	v_add_f32_e32 v15, v120, v15                               // 000000020EB4: 021E1F78
	v_add_f32_e32 v15, v121, v15                               // 000000020EB8: 021E1F79
	v_add_f32_e32 v15, v122, v15                               // 000000020EBC: 021E1F7A
	v_add_f32_e32 v15, v123, v15                               // 000000020EC0: 021E1F7B
	v_add_f32_e32 v15, v124, v15                               // 000000020EC4: 021E1F7C
	v_add_f32_e32 v15, v125, v15                               // 000000020EC8: 021E1F7D
	v_add_f32_e32 v15, v126, v15                               // 000000020ECC: 021E1F7E
	v_add_f32_e32 v15, v127, v15                               // 000000020ED0: 021E1F7F
	v_add_f32_e32 v38, v15, v38                                // 000000020ED4: 024C4D0F
	s_waitcnt lgkmcnt(0)                                       // 000000020ED8: BF8CC07F
	v_max3_f32 v48, |v64|, |v65|, v48                          // 000000020EDC: D1D30330 04C28340
	v_max3_f32 v48, |v66|, |v67|, v48                          // 000000020EE4: D1D30330 04C28742
	v_max3_f32 v48, |v68|, |v69|, v48                          // 000000020EEC: D1D30330 04C28B44
	v_max3_f32 v48, |v70|, |v71|, v48                          // 000000020EF4: D1D30330 04C28F46
	v_max3_f32 v48, |v72|, |v73|, v48                          // 000000020EFC: D1D30330 04C29348
	v_max3_f32 v48, |v74|, |v75|, v48                          // 000000020F04: D1D30330 04C2974A
	v_max3_f32 v48, |v76|, |v77|, v48                          // 000000020F0C: D1D30330 04C29B4C
	v_max3_f32 v48, |v78|, |v79|, v48                          // 000000020F14: D1D30330 04C29F4E
	s_nop 2                                                    // 000000020F1C: BF800002
	v_rcp_f32_e32 v48, v48                                     // 000000020F20: 7E604530
	s_nop 1                                                    // 000000020F24: BF800001
	v_mul_f32_e32 v48, 0x43700000, v48                         // 000000020F28: 0A6060FF 43700000
	v_mul_f32_e32 v112, v48, v240                              // 000000020F30: 0AE1E130
	v_mul_f32_e32 v113, v48, v241                              // 000000020F34: 0AE3E330
	v_mul_f32_e32 v114, v48, v242                              // 000000020F38: 0AE5E530
	v_mul_f32_e32 v115, v48, v243                              // 000000020F3C: 0AE7E730
	v_mul_f32_e32 v116, v48, v244                              // 000000020F40: 0AE9E930
	v_mul_f32_e32 v117, v48, v245                              // 000000020F44: 0AEBEB30
	v_mul_f32_e32 v118, v48, v246                              // 000000020F48: 0AEDED30
	v_mul_f32_e32 v119, v48, v247                              // 000000020F4C: 0AEFEF30
	v_mul_f32_e32 v120, v48, v248                              // 000000020F50: 0AF1F130
	v_mul_f32_e32 v121, v48, v249                              // 000000020F54: 0AF3F330
	v_mul_f32_e32 v122, v48, v250                              // 000000020F58: 0AF5F530
	v_mul_f32_e32 v123, v48, v251                              // 000000020F5C: 0AF7F730
	v_mul_f32_e32 v124, v48, v252                              // 000000020F60: 0AF9F930
	v_mul_f32_e32 v125, v48, v253                              // 000000020F64: 0AFBFB30
	v_mul_f32_e32 v126, v48, v254                              // 000000020F68: 0AFDFD30
	v_mul_f32_e32 v127, v48, v255                              // 000000020F6C: 0AFFFF30
	v_cvt_pk_fp8_f32 v112, v112, v113                          // 000000020F70: D2A20070 0002E370
	v_cvt_pk_fp8_f32 v112, v114, v115 op_sel:[0,0,1]           // 000000020F78: D2A24070 0002E772
	v_cvt_pk_fp8_f32 v113, v116, v117                          // 000000020F80: D2A20071 0002EB74
	v_cvt_pk_fp8_f32 v113, v118, v119 op_sel:[0,0,1]           // 000000020F88: D2A24071 0002EF76
	v_cvt_pk_fp8_f32 v114, v120, v121                          // 000000020F90: D2A20072 0002F378
	v_cvt_pk_fp8_f32 v114, v122, v123 op_sel:[0,0,1]           // 000000020F98: D2A24072 0002F77A
	v_cvt_pk_fp8_f32 v115, v124, v125                          // 000000020FA0: D2A20073 0002FB7C
	v_cvt_pk_fp8_f32 v115, v126, v127 op_sel:[0,0,1]           // 000000020FA8: D2A24073 0002FF7E
	ds_write_b32 v10, v112 offset:25088                        // 000000020FB0: D81A6200 0000700A
	ds_write_b32 v10, v113 offset:26112                        // 000000020FB8: D81A6600 0000710A
	ds_write_b32 v10, v114 offset:27136                        // 000000020FC0: D81A6A00 0000720A
	ds_write_b32 v10, v115 offset:28160                        // 000000020FC8: D81A6E00 0000730A
	v_add_f32_e32 v208, v208, v176                             // 000000020FD0: 03A161D0
	v_add_f32_e32 v209, v209, v177                             // 000000020FD4: 03A363D1
	v_add_f32_e32 v210, v210, v178                             // 000000020FD8: 03A565D2
	v_add_f32_e32 v211, v211, v179                             // 000000020FDC: 03A767D3
	v_add_f32_e32 v212, v212, v180                             // 000000020FE0: 03A969D4
	v_add_f32_e32 v213, v213, v181                             // 000000020FE4: 03AB6BD5
	v_add_f32_e32 v214, v214, v182                             // 000000020FE8: 03AD6DD6
	v_add_f32_e32 v215, v215, v183                             // 000000020FEC: 03AF6FD7
	v_rcp_f32_e32 v44, v48                                     // 000000020FF0: 7E584530
	s_waitcnt lgkmcnt(0)                                       // 000000020FF4: BF8CC07F
	s_barrier                                                  // 000000020FF8: BF8A0000
	ds_read_b64 v[112:113], v9 offset:25088                    // 000000020FFC: D8EC6200 70000009
	ds_read_b64 v[114:115], v9 offset:25216                    // 000000021004: D8EC6280 72000009
	ds_read_b64 v[116:117], v9 offset:26112                    // 00000002100C: D8EC6600 74000009
	ds_read_b64 v[118:119], v9 offset:26240                    // 000000021014: D8EC6680 76000009
	ds_read_b64 v[120:121], v9 offset:27136                    // 00000002101C: D8EC6A00 78000009
	ds_read_b64 v[122:123], v9 offset:27264                    // 000000021024: D8EC6A80 7A000009
	ds_read_b64 v[124:125], v9 offset:28160                    // 00000002102C: D8EC6E00 7C000009
	ds_read_b64 v[126:127], v9 offset:28288                    // 000000021034: D8EC6E80 7E000009
	v_mov_b32_dpp v64, v43 row_shr:4 row_mask:0xf bank_mask:0xf// 00000002103C: 7E8002FA FF01142B
	v_mov_b32_dpp v65, v43 row_shl:4 row_mask:0xf bank_mask:0xf// 000000021044: 7E8202FA FF01042B
	v_cndmask_b32_e64 v248, v43, v64, s[44:45]                 // 00000002104C: D10000F8 00B2812B
	v_cndmask_b32_e64 v249, v65, v43, s[44:45]                 // 000000021054: D10000F9 00B25741
	v_mov_b32_dpp v64, v248 row_shr:8 row_mask:0xf bank_mask:0xf// 00000002105C: 7E8002FA FF0118F8
	v_mov_b32_dpp v65, v248 row_shl:8 row_mask:0xf bank_mask:0xf// 000000021064: 7E8202FA FF0108F8
	v_mov_b32_dpp v66, v249 row_shr:8 row_mask:0xf bank_mask:0xf// 00000002106C: 7E8402FA FF0118F9
	v_mov_b32_dpp v67, v249 row_shl:8 row_mask:0xf bank_mask:0xf// 000000021074: 7E8602FA FF0108F9
	v_mov_b32_e32 v68, v248                                    // 00000002107C: 7E8803F8
	v_mov_b32_e32 v69, v249                                    // 000000021080: 7E8A03F9
	v_cndmask_b32_e64 v248, v68, v64, s[42:43]                 // 000000021084: D10000F8 00AA8144
	v_cndmask_b32_e64 v250, v68, v65, s[78:79]                 // 00000002108C: D10000FA 013A8344
	v_cndmask_b32_e64 v249, v69, v66, s[42:43]                 // 000000021094: D10000F9 00AA8545
	v_cndmask_b32_e64 v251, v69, v67, s[78:79]                 // 00000002109C: D10000FB 013A8745
	v_mov_b32_dpp v64, v58 row_shr:4 row_mask:0xf bank_mask:0xf// 0000000210A4: 7E8002FA FF01143A
	v_mov_b32_dpp v65, v58 row_shl:4 row_mask:0xf bank_mask:0xf// 0000000210AC: 7E8202FA FF01043A
	v_cndmask_b32_e64 v252, v58, v64, s[44:45]                 // 0000000210B4: D10000FC 00B2813A
	v_cndmask_b32_e64 v253, v65, v58, s[44:45]                 // 0000000210BC: D10000FD 00B27541
	v_mov_b32_dpp v64, v252 row_shr:8 row_mask:0xf bank_mask:0xf// 0000000210C4: 7E8002FA FF0118FC
	v_mov_b32_dpp v65, v252 row_shl:8 row_mask:0xf bank_mask:0xf// 0000000210CC: 7E8202FA FF0108FC
	v_mov_b32_dpp v66, v253 row_shr:8 row_mask:0xf bank_mask:0xf// 0000000210D4: 7E8402FA FF0118FD
	v_mov_b32_dpp v67, v253 row_shl:8 row_mask:0xf bank_mask:0xf// 0000000210DC: 7E8602FA FF0108FD
	v_mov_b32_e32 v68, v252                                    // 0000000210E4: 7E8803FC
	v_mov_b32_e32 v69, v253                                    // 0000000210E8: 7E8A03FD
	v_cndmask_b32_e64 v252, v68, v64, s[42:43]                 // 0000000210EC: D10000FC 00AA8144
	v_cndmask_b32_e64 v254, v68, v65, s[78:79]                 // 0000000210F4: D10000FE 013A8344
	v_cndmask_b32_e64 v253, v69, v66, s[42:43]                 // 0000000210FC: D10000FD 00AA8545
	v_cndmask_b32_e64 v255, v69, v67, s[78:79]                 // 000000021104: D10000FF 013A8745
	v_mul_f32_e32 v128, v19, v128                              // 00000002110C: 0B010113
	v_mul_f32_e32 v129, v19, v129                              // 000000021110: 0B030313
	v_mul_f32_e32 v130, v19, v130                              // 000000021114: 0B050513
	v_mul_f32_e32 v131, v19, v131                              // 000000021118: 0B070713
	v_mul_f32_e32 v132, v19, v132                              // 00000002111C: 0B090913
	v_mul_f32_e32 v133, v19, v133                              // 000000021120: 0B0B0B13
	v_mul_f32_e32 v134, v19, v134                              // 000000021124: 0B0D0D13
	v_mul_f32_e32 v135, v19, v135                              // 000000021128: 0B0F0F13
	v_mul_f32_e32 v136, v19, v136                              // 00000002112C: 0B111113
	v_mul_f32_e32 v137, v19, v137                              // 000000021130: 0B131313
	v_mul_f32_e32 v138, v19, v138                              // 000000021134: 0B151513
	v_mul_f32_e32 v139, v19, v139                              // 000000021138: 0B171713
	v_mul_f32_e32 v140, v19, v140                              // 00000002113C: 0B191913
	v_mul_f32_e32 v141, v19, v141                              // 000000021140: 0B1B1B13
	v_mul_f32_e32 v142, v19, v142                              // 000000021144: 0B1D1D13
	v_mul_f32_e32 v143, v19, v143                              // 000000021148: 0B1F1F13
	v_mul_f32_dpp v128, v248, v128 quad_perm:[0,0,0,0] row_mask:0xf bank_mask:0xf// 00000002114C: 0B0100FA FF0000F8
	v_mul_f32_dpp v129, v248, v129 quad_perm:[1,1,1,1] row_mask:0xf bank_mask:0xf// 000000021154: 0B0302FA FF0055F8
	v_mul_f32_dpp v130, v248, v130 quad_perm:[2,2,2,2] row_mask:0xf bank_mask:0xf// 00000002115C: 0B0504FA FF00AAF8
	v_mul_f32_dpp v131, v248, v131 quad_perm:[3,3,3,3] row_mask:0xf bank_mask:0xf// 000000021164: 0B0706FA FF00FFF8
	v_mul_f32_dpp v132, v249, v132 quad_perm:[0,0,0,0] row_mask:0xf bank_mask:0xf// 00000002116C: 0B0908FA FF0000F9
	v_mul_f32_dpp v133, v249, v133 quad_perm:[1,1,1,1] row_mask:0xf bank_mask:0xf// 000000021174: 0B0B0AFA FF0055F9
	v_mul_f32_dpp v134, v249, v134 quad_perm:[2,2,2,2] row_mask:0xf bank_mask:0xf// 00000002117C: 0B0D0CFA FF00AAF9
	v_mul_f32_dpp v135, v249, v135 quad_perm:[3,3,3,3] row_mask:0xf bank_mask:0xf// 000000021184: 0B0F0EFA FF00FFF9
	v_mul_f32_dpp v136, v250, v136 quad_perm:[0,0,0,0] row_mask:0xf bank_mask:0xf// 00000002118C: 0B1110FA FF0000FA
	v_mul_f32_dpp v137, v250, v137 quad_perm:[1,1,1,1] row_mask:0xf bank_mask:0xf// 000000021194: 0B1312FA FF0055FA
	v_mul_f32_dpp v138, v250, v138 quad_perm:[2,2,2,2] row_mask:0xf bank_mask:0xf// 00000002119C: 0B1514FA FF00AAFA
	v_mul_f32_dpp v139, v250, v139 quad_perm:[3,3,3,3] row_mask:0xf bank_mask:0xf// 0000000211A4: 0B1716FA FF00FFFA
	v_mul_f32_dpp v140, v251, v140 quad_perm:[0,0,0,0] row_mask:0xf bank_mask:0xf// 0000000211AC: 0B1918FA FF0000FB
	v_mul_f32_dpp v141, v251, v141 quad_perm:[1,1,1,1] row_mask:0xf bank_mask:0xf// 0000000211B4: 0B1B1AFA FF0055FB
	v_mul_f32_dpp v142, v251, v142 quad_perm:[2,2,2,2] row_mask:0xf bank_mask:0xf// 0000000211BC: 0B1D1CFA FF00AAFB
	v_mul_f32_dpp v143, v251, v143 quad_perm:[3,3,3,3] row_mask:0xf bank_mask:0xf// 0000000211C4: 0B1F1EFA FF00FFFB
	s_cmp_le_i32 s90, s89                                      // 0000000211CC: BF05595A
	s_cbranch_scc1 label_7C66                                  // 0000000211D0: BF850071
	v_mov_b32_e32 v66, 0xff800000                              // 0000000211D4: 7E8402FF FF800000
	s_mov_b32 s60, s90                                         // 0000000211DC: BEBC005A
	s_add_u32 s61, s89, 0xff                                   // 0000000211E0: 803DFF59 000000FF
	v_mov_b32_e32 v64, s61                                     // 0000000211E8: 7E80023D
	v_lshrrev_b32_e32 v240, 4, v0                              // 0000000211EC: 21E00084
	v_mul_i32_i24_e32 v240, 4, v240                            // 0000000211F0: 0DE1E084
	v_add_u32_e32 v240, s60, v240                              // 0000000211F4: 69E1E03C
	s_mov_b32 s61, 1                                           // 0000000211F8: BEBD0081
	s_mul_i32 s60, 16, s7                                      // 0000000211FC: 923C0790
	v_sub_u32_e64 v240, v240, s61                              // 000000021200: D13500F0 00007BF0
	v_add_u32_e32 v240, s60, v240                              // 000000021208: 69E1E03C
	v_add_u32_e32 v241, 1, v240                                // 00000002120C: 69E3E081
	v_add_u32_e32 v242, 2, v240                                // 000000021210: 69E5E082
	v_add_u32_e32 v243, 3, v240                                // 000000021214: 69E7E083
	v_cmp_le_u32_e64 s[40:41], v240, v64                       // 000000021218: D0CB0028 000281F0
	v_add_u32_e32 v240, 64, v240                               // 000000021220: 69E1E0C0
	s_nop 0                                                    // 000000021224: BF800000
	v_cndmask_b32_e64 v128, v66, v128, s[40:41]                // 000000021228: D1000080 00A30142
	v_cmp_le_u32_e64 s[40:41], v241, v64                       // 000000021230: D0CB0028 000281F1
	v_add_u32_e32 v241, 64, v241                               // 000000021238: 69E3E2C0
	s_nop 0                                                    // 00000002123C: BF800000
	v_cndmask_b32_e64 v129, v66, v129, s[40:41]                // 000000021240: D1000081 00A30342
	v_cmp_le_u32_e64 s[40:41], v242, v64                       // 000000021248: D0CB0028 000281F2
	v_add_u32_e32 v242, 64, v242                               // 000000021250: 69E5E4C0
	s_nop 0                                                    // 000000021254: BF800000
	v_cndmask_b32_e64 v130, v66, v130, s[40:41]                // 000000021258: D1000082 00A30542
	v_cmp_le_u32_e64 s[40:41], v243, v64                       // 000000021260: D0CB0028 000281F3
	v_add_u32_e32 v243, 64, v243                               // 000000021268: 69E7E6C0
	s_nop 0                                                    // 00000002126C: BF800000
	v_cndmask_b32_e64 v131, v66, v131, s[40:41]                // 000000021270: D1000083 00A30742
	v_cmp_le_u32_e64 s[40:41], v240, v64                       // 000000021278: D0CB0028 000281F0
	v_add_u32_e32 v240, 64, v240                               // 000000021280: 69E1E0C0
	s_nop 0                                                    // 000000021284: BF800000
	v_cndmask_b32_e64 v132, v66, v132, s[40:41]                // 000000021288: D1000084 00A30942
	v_cmp_le_u32_e64 s[40:41], v241, v64                       // 000000021290: D0CB0028 000281F1
	v_add_u32_e32 v241, 64, v241                               // 000000021298: 69E3E2C0
	s_nop 0                                                    // 00000002129C: BF800000
	v_cndmask_b32_e64 v133, v66, v133, s[40:41]                // 0000000212A0: D1000085 00A30B42
	v_cmp_le_u32_e64 s[40:41], v242, v64                       // 0000000212A8: D0CB0028 000281F2
	v_add_u32_e32 v242, 64, v242                               // 0000000212B0: 69E5E4C0
	s_nop 0                                                    // 0000000212B4: BF800000
	v_cndmask_b32_e64 v134, v66, v134, s[40:41]                // 0000000212B8: D1000086 00A30D42
	v_cmp_le_u32_e64 s[40:41], v243, v64                       // 0000000212C0: D0CB0028 000281F3
	v_add_u32_e32 v243, 64, v243                               // 0000000212C8: 69E7E6C0
	s_nop 0                                                    // 0000000212CC: BF800000
	v_cndmask_b32_e64 v135, v66, v135, s[40:41]                // 0000000212D0: D1000087 00A30F42
	v_cmp_le_u32_e64 s[40:41], v240, v64                       // 0000000212D8: D0CB0028 000281F0
	v_add_u32_e32 v240, 64, v240                               // 0000000212E0: 69E1E0C0
	s_nop 0                                                    // 0000000212E4: BF800000
	v_cndmask_b32_e64 v136, v66, v136, s[40:41]                // 0000000212E8: D1000088 00A31142
	v_cmp_le_u32_e64 s[40:41], v241, v64                       // 0000000212F0: D0CB0028 000281F1
	v_add_u32_e32 v241, 64, v241                               // 0000000212F8: 69E3E2C0
	s_nop 0                                                    // 0000000212FC: BF800000
	v_cndmask_b32_e64 v137, v66, v137, s[40:41]                // 000000021300: D1000089 00A31342
	v_cmp_le_u32_e64 s[40:41], v242, v64                       // 000000021308: D0CB0028 000281F2
	v_add_u32_e32 v242, 64, v242                               // 000000021310: 69E5E4C0
	s_nop 0                                                    // 000000021314: BF800000
	v_cndmask_b32_e64 v138, v66, v138, s[40:41]                // 000000021318: D100008A 00A31542
	v_cmp_le_u32_e64 s[40:41], v243, v64                       // 000000021320: D0CB0028 000281F3
	v_add_u32_e32 v243, 64, v243                               // 000000021328: 69E7E6C0
	s_nop 0                                                    // 00000002132C: BF800000
	v_cndmask_b32_e64 v139, v66, v139, s[40:41]                // 000000021330: D100008B 00A31742
	v_cmp_le_u32_e64 s[40:41], v240, v64                       // 000000021338: D0CB0028 000281F0
	v_add_u32_e32 v240, 64, v240                               // 000000021340: 69E1E0C0
	s_nop 0                                                    // 000000021344: BF800000
	v_cndmask_b32_e64 v140, v66, v140, s[40:41]                // 000000021348: D100008C 00A31942
	v_cmp_le_u32_e64 s[40:41], v241, v64                       // 000000021350: D0CB0028 000281F1
	v_add_u32_e32 v241, 64, v241                               // 000000021358: 69E3E2C0
	s_nop 0                                                    // 00000002135C: BF800000
	v_cndmask_b32_e64 v141, v66, v141, s[40:41]                // 000000021360: D100008D 00A31B42
	v_cmp_le_u32_e64 s[40:41], v242, v64                       // 000000021368: D0CB0028 000281F2
	v_add_u32_e32 v242, 64, v242                               // 000000021370: 69E5E4C0
	s_nop 0                                                    // 000000021374: BF800000
	v_cndmask_b32_e64 v142, v66, v142, s[40:41]                // 000000021378: D100008E 00A31D42
	v_cmp_le_u32_e64 s[40:41], v243, v64                       // 000000021380: D0CB0028 000281F3
	v_add_u32_e32 v243, 64, v243                               // 000000021388: 69E7E6C0
	s_nop 0                                                    // 00000002138C: BF800000
	v_cndmask_b32_e64 v143, v66, v143, s[40:41]                // 000000021390: D100008F 00A31F42

0000000000021398 <label_7C66>:
	v_mov_b32_e32 v48, v128                                    // 000000021398: 7E600380
	v_max3_f32 v48, v128, v129, v48                            // 00000002139C: D1D30030 04C30380
	v_max3_f32 v48, v130, v131, v48                            // 0000000213A4: D1D30030 04C30782
	v_max3_f32 v48, v132, v133, v48                            // 0000000213AC: D1D30030 04C30B84
	v_max3_f32 v48, v134, v135, v48                            // 0000000213B4: D1D30030 04C30F86
	v_max3_f32 v48, v136, v137, v48                            // 0000000213BC: D1D30030 04C31388
	v_max3_f32 v48, v138, v139, v48                            // 0000000213C4: D1D30030 04C3178A
	v_max3_f32 v48, v140, v141, v48                            // 0000000213CC: D1D30030 04C31B8C
	v_max3_f32 v48, v142, v143, v48                            // 0000000213D4: D1D30030 04C31F8E
	ds_write_b32 v8, v48 offset:16896                          // 0000000213DC: D81A4200 00003008
	v_mul_f32_e32 v216, v50, v216                              // 0000000213E4: 0BB1B132
	v_mul_f32_e32 v217, v50, v217                              // 0000000213E8: 0BB3B332
	v_mul_f32_e32 v218, v50, v218                              // 0000000213EC: 0BB5B532
	v_mul_f32_e32 v219, v50, v219                              // 0000000213F0: 0BB7B732
	v_mul_f32_e32 v220, v50, v220                              // 0000000213F4: 0BB9B932
	v_mul_f32_e32 v221, v50, v221                              // 0000000213F8: 0BBBBB32
	v_mul_f32_e32 v222, v50, v222                              // 0000000213FC: 0BBDBD32
	v_mul_f32_e32 v223, v50, v223                              // 000000021400: 0BBFBF32
	s_waitcnt lgkmcnt(0)                                       // 000000021404: BF8CC07F
	s_barrier                                                  // 000000021408: BF8A0000
	ds_read_b32 v64, v7 offset:16896                           // 00000002140C: D86C4200 40000007
	ds_read_b32 v65, v7 offset:16960                           // 000000021414: D86C4240 41000007
	ds_read_b32 v66, v7 offset:17024                           // 00000002141C: D86C4280 42000007
	ds_read_b32 v67, v7 offset:17088                           // 000000021424: D86C42C0 43000007
	ds_read_b32 v68, v7 offset:17152                           // 00000002142C: D86C4300 44000007
	ds_read_b32 v69, v7 offset:17216                           // 000000021434: D86C4340 45000007
	ds_read_b32 v70, v7 offset:17280                           // 00000002143C: D86C4380 46000007
	ds_read_b32 v71, v7 offset:17344                           // 000000021444: D86C43C0 47000007
	ds_read_b32 v72, v7 offset:17408                           // 00000002144C: D86C4400 48000007
	ds_read_b32 v73, v7 offset:17472                           // 000000021454: D86C4440 49000007
	ds_read_b32 v74, v7 offset:17536                           // 00000002145C: D86C4480 4A000007
	ds_read_b32 v75, v7 offset:17600                           // 000000021464: D86C44C0 4B000007
	ds_read_b32 v76, v7 offset:17664                           // 00000002146C: D86C4500 4C000007
	ds_read_b32 v77, v7 offset:17728                           // 000000021474: D86C4540 4D000007
	ds_read_b32 v78, v7 offset:17792                           // 00000002147C: D86C4580 4E000007
	ds_read_b32 v79, v7 offset:17856                           // 000000021484: D86C45C0 4F000007
	v_mul_f32_e32 v184, v45, v184                              // 00000002148C: 0B71712D
	v_mul_f32_e32 v185, v45, v185                              // 000000021490: 0B73732D
	v_mul_f32_e32 v186, v45, v186                              // 000000021494: 0B75752D
	v_mul_f32_e32 v187, v45, v187                              // 000000021498: 0B77772D
	v_mul_f32_e32 v188, v45, v188                              // 00000002149C: 0B79792D
	v_mul_f32_e32 v189, v45, v189                              // 0000000214A0: 0B7B7B2D
	v_mul_f32_e32 v190, v45, v190                              // 0000000214A4: 0B7D7D2D
	v_mul_f32_e32 v191, v45, v191                              // 0000000214A8: 0B7F7F2D
	s_waitcnt lgkmcnt(0)                                       // 0000000214AC: BF8CC07F
	v_max3_f32 v48, v64, v65, v48                              // 0000000214B0: D1D30030 04C28340
	v_max3_f32 v48, v66, v67, v48                              // 0000000214B8: D1D30030 04C28742
	v_max3_f32 v48, v68, v69, v48                              // 0000000214C0: D1D30030 04C28B44
	v_max3_f32 v48, v70, v71, v48                              // 0000000214C8: D1D30030 04C28F46
	v_max3_f32 v48, v72, v73, v48                              // 0000000214D0: D1D30030 04C29348
	v_max3_f32 v48, v74, v75, v48                              // 0000000214D8: D1D30030 04C2974A
	v_max3_f32 v48, v76, v77, v48                              // 0000000214E0: D1D30030 04C29B4C
	v_max3_f32 v48, v78, v79, v48                              // 0000000214E8: D1D30030 04C29F4E
	v_mov_b32_e32 v64, 0xff800000                              // 0000000214F0: 7E8002FF FF800000
	v_cmp_eq_u32_e64 s[40:41], v64, v12                        // 0000000214F8: D0CA0028 00021940
	s_nop 1                                                    // 000000021500: BF800001
	v_max_f32_e32 v15, v48, v12                                // 000000021504: 161E1930
	v_mul_f32_e32 v53, s64, v15                                // 000000021508: 0A6A1E40
	v_fma_f32 v128, v128, s64, -v53                            // 00000002150C: D1CB0080 84D48180
	v_fma_f32 v129, v129, s64, -v53                            // 000000021514: D1CB0081 84D48181
	v_fma_f32 v130, v130, s64, -v53                            // 00000002151C: D1CB0082 84D48182
	v_fma_f32 v131, v131, s64, -v53                            // 000000021524: D1CB0083 84D48183
	v_fma_f32 v132, v132, s64, -v53                            // 00000002152C: D1CB0084 84D48184
	v_fma_f32 v133, v133, s64, -v53                            // 000000021534: D1CB0085 84D48185
	v_fma_f32 v134, v134, s64, -v53                            // 00000002153C: D1CB0086 84D48186
	v_fma_f32 v135, v135, s64, -v53                            // 000000021544: D1CB0087 84D48187
	v_fma_f32 v136, v136, s64, -v53                            // 00000002154C: D1CB0088 84D48188
	v_fma_f32 v137, v137, s64, -v53                            // 000000021554: D1CB0089 84D48189
	v_fma_f32 v138, v138, s64, -v53                            // 00000002155C: D1CB008A 84D4818A
	v_fma_f32 v139, v139, s64, -v53                            // 000000021564: D1CB008B 84D4818B
	v_fma_f32 v140, v140, s64, -v53                            // 00000002156C: D1CB008C 84D4818C
	v_fma_f32 v141, v141, s64, -v53                            // 000000021574: D1CB008D 84D4818D
	v_fma_f32 v142, v142, s64, -v53                            // 00000002157C: D1CB008E 84D4818E
	v_fma_f32 v143, v143, s64, -v53                            // 000000021584: D1CB008F 84D4818F
	v_exp_f32_e32 v128, v128                                   // 00000002158C: 7F004180
	v_exp_f32_e32 v129, v129                                   // 000000021590: 7F024181
	v_exp_f32_e32 v130, v130                                   // 000000021594: 7F044182
	v_exp_f32_e32 v131, v131                                   // 000000021598: 7F064183
	v_exp_f32_e32 v132, v132                                   // 00000002159C: 7F084184
	v_exp_f32_e32 v133, v133                                   // 0000000215A0: 7F0A4185
	v_exp_f32_e32 v134, v134                                   // 0000000215A4: 7F0C4186
	v_exp_f32_e32 v135, v135                                   // 0000000215A8: 7F0E4187
	v_exp_f32_e32 v136, v136                                   // 0000000215AC: 7F104188
	v_exp_f32_e32 v137, v137                                   // 0000000215B0: 7F124189
	v_exp_f32_e32 v138, v138                                   // 0000000215B4: 7F14418A
	v_exp_f32_e32 v139, v139                                   // 0000000215B8: 7F16418B
	v_exp_f32_e32 v140, v140                                   // 0000000215BC: 7F18418C
	v_exp_f32_e32 v141, v141                                   // 0000000215C0: 7F1A418D
	v_exp_f32_e32 v142, v142                                   // 0000000215C4: 7F1C418E
	v_exp_f32_e32 v143, v143                                   // 0000000215C8: 7F1E418F
	v_mul_f32_dpp v240, v252, v128 quad_perm:[0,0,0,0] row_mask:0xf bank_mask:0xf// 0000000215CC: 0BE100FA FF0000FC
	v_mul_f32_dpp v241, v252, v129 quad_perm:[1,1,1,1] row_mask:0xf bank_mask:0xf// 0000000215D4: 0BE302FA FF0055FC
	v_mul_f32_dpp v242, v252, v130 quad_perm:[2,2,2,2] row_mask:0xf bank_mask:0xf// 0000000215DC: 0BE504FA FF00AAFC
	v_mul_f32_dpp v243, v252, v131 quad_perm:[3,3,3,3] row_mask:0xf bank_mask:0xf// 0000000215E4: 0BE706FA FF00FFFC
	v_mul_f32_dpp v244, v253, v132 quad_perm:[0,0,0,0] row_mask:0xf bank_mask:0xf// 0000000215EC: 0BE908FA FF0000FD
	v_mul_f32_dpp v245, v253, v133 quad_perm:[1,1,1,1] row_mask:0xf bank_mask:0xf// 0000000215F4: 0BEB0AFA FF0055FD
	v_mul_f32_dpp v246, v253, v134 quad_perm:[2,2,2,2] row_mask:0xf bank_mask:0xf// 0000000215FC: 0BED0CFA FF00AAFD
	v_mul_f32_dpp v247, v253, v135 quad_perm:[3,3,3,3] row_mask:0xf bank_mask:0xf// 000000021604: 0BEF0EFA FF00FFFD
	v_mul_f32_dpp v248, v254, v136 quad_perm:[0,0,0,0] row_mask:0xf bank_mask:0xf// 00000002160C: 0BF110FA FF0000FE
	v_mul_f32_dpp v249, v254, v137 quad_perm:[1,1,1,1] row_mask:0xf bank_mask:0xf// 000000021614: 0BF312FA FF0055FE
	v_mul_f32_dpp v250, v254, v138 quad_perm:[2,2,2,2] row_mask:0xf bank_mask:0xf// 00000002161C: 0BF514FA FF00AAFE
	v_mul_f32_dpp v251, v254, v139 quad_perm:[3,3,3,3] row_mask:0xf bank_mask:0xf// 000000021624: 0BF716FA FF00FFFE
	v_mul_f32_dpp v252, v255, v140 quad_perm:[0,0,0,0] row_mask:0xf bank_mask:0xf// 00000002162C: 0BF918FA FF0000FF
	v_mul_f32_dpp v253, v255, v141 quad_perm:[1,1,1,1] row_mask:0xf bank_mask:0xf// 000000021634: 0BFB1AFA FF0055FF
	v_mul_f32_dpp v254, v255, v142 quad_perm:[2,2,2,2] row_mask:0xf bank_mask:0xf// 00000002163C: 0BFD1CFA FF00AAFF
	v_mul_f32_dpp v255, v255, v143 quad_perm:[3,3,3,3] row_mask:0xf bank_mask:0xf// 000000021644: 0BFF1EFA FF00FFFF
	v_mov_b32_e32 v48, 0x358637bd                              // 00000002164C: 7E6002FF 358637BD
	v_max3_f32 v48, |v240|, |v241|, v48                        // 000000021654: D1D30330 04C3E3F0
	v_max3_f32 v48, |v242|, |v243|, v48                        // 00000002165C: D1D30330 04C3E7F2
	v_max3_f32 v48, |v244|, |v245|, v48                        // 000000021664: D1D30330 04C3EBF4
	v_max3_f32 v48, |v246|, |v247|, v48                        // 00000002166C: D1D30330 04C3EFF6
	v_max3_f32 v48, |v248|, |v249|, v48                        // 000000021674: D1D30330 04C3F3F8
	v_max3_f32 v48, |v250|, |v251|, v48                        // 00000002167C: D1D30330 04C3F7FA
	v_max3_f32 v48, |v252|, |v253|, v48                        // 000000021684: D1D30330 04C3FBFC
	v_max3_f32 v48, |v254|, |v255|, v48                        // 00000002168C: D1D30330 04C3FFFE
	ds_write_b32 v8, v48 offset:20992                          // 000000021694: D81A5200 00003008
	v_sub_f32_e32 v50, v12, v15                                // 00000002169C: 04641F0C
	v_cndmask_b32_e64 v50, v50, 0, s[40:41]                    // 0000000216A0: D1000032 00A10132
	v_mov_b32_e32 v12, v15                                     // 0000000216A8: 7E18030F
	v_mul_f32_e32 v50, s64, v50                                // 0000000216AC: 0A646440
	v_exp_f32_e32 v50, v50                                     // 0000000216B0: 7E644132
	s_waitcnt lgkmcnt(0)                                       // 0000000216B4: BF8CC07F
	s_barrier                                                  // 0000000216B8: BF8A0000
	ds_read_b32 v64, v7 offset:20992                           // 0000000216BC: D86C5200 40000007
	ds_read_b32 v65, v7 offset:21056                           // 0000000216C4: D86C5240 41000007
	ds_read_b32 v66, v7 offset:21120                           // 0000000216CC: D86C5280 42000007
	ds_read_b32 v67, v7 offset:21184                           // 0000000216D4: D86C52C0 43000007
	ds_read_b32 v68, v7 offset:21248                           // 0000000216DC: D86C5300 44000007
	ds_read_b32 v69, v7 offset:21312                           // 0000000216E4: D86C5340 45000007
	ds_read_b32 v70, v7 offset:21376                           // 0000000216EC: D86C5380 46000007
	ds_read_b32 v71, v7 offset:21440                           // 0000000216F4: D86C53C0 47000007
	ds_read_b32 v72, v7 offset:21504                           // 0000000216FC: D86C5400 48000007
	ds_read_b32 v73, v7 offset:21568                           // 000000021704: D86C5440 49000007
	ds_read_b32 v74, v7 offset:21632                           // 00000002170C: D86C5480 4A000007
	ds_read_b32 v75, v7 offset:21696                           // 000000021714: D86C54C0 4B000007
	ds_read_b32 v76, v7 offset:21760                           // 00000002171C: D86C5500 4C000007
	ds_read_b32 v77, v7 offset:21824                           // 000000021724: D86C5540 4D000007
	ds_read_b32 v78, v7 offset:21888                           // 00000002172C: D86C5580 4E000007
	ds_read_b32 v79, v7 offset:21952                           // 000000021734: D86C55C0 4F000007
	v_mul_f32_e32 v39, v50, v39                                // 00000002173C: 0A4E4F32
	v_mov_b32_e32 v15, v128                                    // 000000021740: 7E1E0380
	v_add_f32_e32 v15, v129, v15                               // 000000021744: 021E1F81
	v_add_f32_e32 v15, v130, v15                               // 000000021748: 021E1F82
	v_add_f32_e32 v15, v131, v15                               // 00000002174C: 021E1F83
	v_add_f32_e32 v15, v132, v15                               // 000000021750: 021E1F84
	v_add_f32_e32 v15, v133, v15                               // 000000021754: 021E1F85
	v_add_f32_e32 v15, v134, v15                               // 000000021758: 021E1F86
	v_add_f32_e32 v15, v135, v15                               // 00000002175C: 021E1F87
	v_add_f32_e32 v15, v136, v15                               // 000000021760: 021E1F88
	v_add_f32_e32 v15, v137, v15                               // 000000021764: 021E1F89
	v_add_f32_e32 v15, v138, v15                               // 000000021768: 021E1F8A
	v_add_f32_e32 v15, v139, v15                               // 00000002176C: 021E1F8B
	v_add_f32_e32 v15, v140, v15                               // 000000021770: 021E1F8C
	v_add_f32_e32 v15, v141, v15                               // 000000021774: 021E1F8D
	v_add_f32_e32 v15, v142, v15                               // 000000021778: 021E1F8E
	v_add_f32_e32 v15, v143, v15                               // 00000002177C: 021E1F8F
	v_add_f32_e32 v39, v15, v39                                // 000000021780: 024E4F0F
	s_waitcnt lgkmcnt(0)                                       // 000000021784: BF8CC07F
	v_max3_f32 v48, |v64|, |v65|, v48                          // 000000021788: D1D30330 04C28340
	v_max3_f32 v48, |v66|, |v67|, v48                          // 000000021790: D1D30330 04C28742
	v_max3_f32 v48, |v68|, |v69|, v48                          // 000000021798: D1D30330 04C28B44
	v_max3_f32 v48, |v70|, |v71|, v48                          // 0000000217A0: D1D30330 04C28F46
	v_max3_f32 v48, |v72|, |v73|, v48                          // 0000000217A8: D1D30330 04C29348
	v_max3_f32 v48, |v74|, |v75|, v48                          // 0000000217B0: D1D30330 04C2974A
	v_max3_f32 v48, |v76|, |v77|, v48                          // 0000000217B8: D1D30330 04C29B4C
	v_max3_f32 v48, |v78|, |v79|, v48                          // 0000000217C0: D1D30330 04C29F4E
	s_nop 2                                                    // 0000000217C8: BF800002
	v_rcp_f32_e32 v48, v48                                     // 0000000217CC: 7E604530
	s_nop 1                                                    // 0000000217D0: BF800001
	v_mul_f32_e32 v48, 0x43700000, v48                         // 0000000217D4: 0A6060FF 43700000
	v_mul_f32_e32 v128, v48, v240                              // 0000000217DC: 0B01E130
	v_mul_f32_e32 v129, v48, v241                              // 0000000217E0: 0B03E330
	v_mul_f32_e32 v130, v48, v242                              // 0000000217E4: 0B05E530
	v_mul_f32_e32 v131, v48, v243                              // 0000000217E8: 0B07E730
	v_mul_f32_e32 v132, v48, v244                              // 0000000217EC: 0B09E930
	v_mul_f32_e32 v133, v48, v245                              // 0000000217F0: 0B0BEB30
	v_mul_f32_e32 v134, v48, v246                              // 0000000217F4: 0B0DED30
	v_mul_f32_e32 v135, v48, v247                              // 0000000217F8: 0B0FEF30
	v_mul_f32_e32 v136, v48, v248                              // 0000000217FC: 0B11F130
	v_mul_f32_e32 v137, v48, v249                              // 000000021800: 0B13F330
	v_mul_f32_e32 v138, v48, v250                              // 000000021804: 0B15F530
	v_mul_f32_e32 v139, v48, v251                              // 000000021808: 0B17F730
	v_mul_f32_e32 v140, v48, v252                              // 00000002180C: 0B19F930
	v_mul_f32_e32 v141, v48, v253                              // 000000021810: 0B1BFB30
	v_mul_f32_e32 v142, v48, v254                              // 000000021814: 0B1DFD30
	v_mul_f32_e32 v143, v48, v255                              // 000000021818: 0B1FFF30
	v_cvt_pk_fp8_f32 v128, v128, v129                          // 00000002181C: D2A20080 00030380
	v_cvt_pk_fp8_f32 v128, v130, v131 op_sel:[0,0,1]           // 000000021824: D2A24080 00030782
	v_cvt_pk_fp8_f32 v129, v132, v133                          // 00000002182C: D2A20081 00030B84
	v_cvt_pk_fp8_f32 v129, v134, v135 op_sel:[0,0,1]           // 000000021834: D2A24081 00030F86
	v_cvt_pk_fp8_f32 v130, v136, v137                          // 00000002183C: D2A20082 00031388
	v_cvt_pk_fp8_f32 v130, v138, v139 op_sel:[0,0,1]           // 000000021844: D2A24082 0003178A
	v_cvt_pk_fp8_f32 v131, v140, v141                          // 00000002184C: D2A20083 00031B8C
	v_cvt_pk_fp8_f32 v131, v142, v143 op_sel:[0,0,1]           // 000000021854: D2A24083 00031F8E
	ds_write_b32 v10, v128 offset:29184                        // 00000002185C: D81A7200 0000800A
	ds_write_b32 v10, v129 offset:30208                        // 000000021864: D81A7600 0000810A
	ds_write_b32 v10, v130 offset:31232                        // 00000002186C: D81A7A00 0000820A
	ds_write_b32 v10, v131 offset:32256                        // 000000021874: D81A7E00 0000830A
	v_add_f32_e32 v216, v216, v184                             // 00000002187C: 03B171D8
	v_add_f32_e32 v217, v217, v185                             // 000000021880: 03B373D9
	v_add_f32_e32 v218, v218, v186                             // 000000021884: 03B575DA
	v_add_f32_e32 v219, v219, v187                             // 000000021888: 03B777DB
	v_add_f32_e32 v220, v220, v188                             // 00000002188C: 03B979DC
	v_add_f32_e32 v221, v221, v189                             // 000000021890: 03BB7BDD
	v_add_f32_e32 v222, v222, v190                             // 000000021894: 03BD7DDE
	v_add_f32_e32 v223, v223, v191                             // 000000021898: 03BF7FDF
	v_rcp_f32_e32 v45, v48                                     // 00000002189C: 7E5A4530
	s_waitcnt lgkmcnt(0)                                       // 0000000218A0: BF8CC07F
	s_barrier                                                  // 0000000218A4: BF8A0000
	ds_read_b64 v[128:129], v9 offset:29184                    // 0000000218A8: D8EC7200 80000009
	ds_read_b64 v[130:131], v9 offset:29312                    // 0000000218B0: D8EC7280 82000009
	ds_read_b64 v[132:133], v9 offset:30208                    // 0000000218B8: D8EC7600 84000009
	ds_read_b64 v[134:135], v9 offset:30336                    // 0000000218C0: D8EC7680 86000009
	ds_read_b64 v[136:137], v9 offset:31232                    // 0000000218C8: D8EC7A00 88000009
	ds_read_b64 v[138:139], v9 offset:31360                    // 0000000218D0: D8EC7A80 8A000009
	ds_read_b64 v[140:141], v9 offset:32256                    // 0000000218D8: D8EC7E00 8C000009
	ds_read_b64 v[142:143], v9 offset:32384                    // 0000000218E0: D8EC7E80 8E000009
	v_mov_b32_dpp v64, v43 row_shr:4 row_mask:0xf bank_mask:0xf// 0000000218E8: 7E8002FA FF01142B
	v_mov_b32_dpp v65, v43 row_shl:4 row_mask:0xf bank_mask:0xf// 0000000218F0: 7E8202FA FF01042B
	v_cndmask_b32_e64 v248, v43, v64, s[44:45]                 // 0000000218F8: D10000F8 00B2812B
	v_cndmask_b32_e64 v249, v65, v43, s[44:45]                 // 000000021900: D10000F9 00B25741
	v_mov_b32_dpp v64, v248 row_shr:8 row_mask:0xf bank_mask:0xf// 000000021908: 7E8002FA FF0118F8
	v_mov_b32_dpp v65, v248 row_shl:8 row_mask:0xf bank_mask:0xf// 000000021910: 7E8202FA FF0108F8
	v_mov_b32_dpp v66, v249 row_shr:8 row_mask:0xf bank_mask:0xf// 000000021918: 7E8402FA FF0118F9
	v_mov_b32_dpp v67, v249 row_shl:8 row_mask:0xf bank_mask:0xf// 000000021920: 7E8602FA FF0108F9
	v_mov_b32_e32 v68, v248                                    // 000000021928: 7E8803F8
	v_mov_b32_e32 v69, v249                                    // 00000002192C: 7E8A03F9
	v_cndmask_b32_e64 v248, v68, v64, s[42:43]                 // 000000021930: D10000F8 00AA8144
	v_cndmask_b32_e64 v250, v68, v65, s[78:79]                 // 000000021938: D10000FA 013A8344
	v_cndmask_b32_e64 v249, v69, v66, s[42:43]                 // 000000021940: D10000F9 00AA8545
	v_cndmask_b32_e64 v251, v69, v67, s[78:79]                 // 000000021948: D10000FB 013A8745
	v_mov_b32_dpp v64, v58 row_shr:4 row_mask:0xf bank_mask:0xf// 000000021950: 7E8002FA FF01143A
	v_mov_b32_dpp v65, v58 row_shl:4 row_mask:0xf bank_mask:0xf// 000000021958: 7E8202FA FF01043A
	v_cndmask_b32_e64 v252, v58, v64, s[44:45]                 // 000000021960: D10000FC 00B2813A
	v_cndmask_b32_e64 v253, v65, v58, s[44:45]                 // 000000021968: D10000FD 00B27541
	v_mov_b32_dpp v64, v252 row_shr:8 row_mask:0xf bank_mask:0xf// 000000021970: 7E8002FA FF0118FC
	v_mov_b32_dpp v65, v252 row_shl:8 row_mask:0xf bank_mask:0xf// 000000021978: 7E8202FA FF0108FC
	v_mov_b32_dpp v66, v253 row_shr:8 row_mask:0xf bank_mask:0xf// 000000021980: 7E8402FA FF0118FD
	v_mov_b32_dpp v67, v253 row_shl:8 row_mask:0xf bank_mask:0xf// 000000021988: 7E8602FA FF0108FD
	v_mov_b32_e32 v68, v252                                    // 000000021990: 7E8803FC
	v_mov_b32_e32 v69, v253                                    // 000000021994: 7E8A03FD
	v_cndmask_b32_e64 v252, v68, v64, s[42:43]                 // 000000021998: D10000FC 00AA8144
	v_cndmask_b32_e64 v254, v68, v65, s[78:79]                 // 0000000219A0: D10000FE 013A8344
	v_cndmask_b32_e64 v253, v69, v66, s[42:43]                 // 0000000219A8: D10000FD 00AA8545
	v_cndmask_b32_e64 v255, v69, v67, s[78:79]                 // 0000000219B0: D10000FF 013A8745
	v_mul_f32_e32 v144, v20, v144                              // 0000000219B8: 0B212114
	v_mul_f32_e32 v145, v20, v145                              // 0000000219BC: 0B232314
	v_mul_f32_e32 v146, v20, v146                              // 0000000219C0: 0B252514
	v_mul_f32_e32 v147, v20, v147                              // 0000000219C4: 0B272714
	v_mul_f32_e32 v148, v20, v148                              // 0000000219C8: 0B292914
	v_mul_f32_e32 v149, v20, v149                              // 0000000219CC: 0B2B2B14
	v_mul_f32_e32 v150, v20, v150                              // 0000000219D0: 0B2D2D14
	v_mul_f32_e32 v151, v20, v151                              // 0000000219D4: 0B2F2F14
	v_mul_f32_e32 v152, v20, v152                              // 0000000219D8: 0B313114
	v_mul_f32_e32 v153, v20, v153                              // 0000000219DC: 0B333314
	v_mul_f32_e32 v154, v20, v154                              // 0000000219E0: 0B353514
	v_mul_f32_e32 v155, v20, v155                              // 0000000219E4: 0B373714
	v_mul_f32_e32 v156, v20, v156                              // 0000000219E8: 0B393914
	v_mul_f32_e32 v157, v20, v157                              // 0000000219EC: 0B3B3B14
	v_mul_f32_e32 v158, v20, v158                              // 0000000219F0: 0B3D3D14
	v_mul_f32_e32 v159, v20, v159                              // 0000000219F4: 0B3F3F14
	v_mul_f32_dpp v144, v248, v144 quad_perm:[0,0,0,0] row_mask:0xf bank_mask:0xf// 0000000219F8: 0B2120FA FF0000F8
	v_mul_f32_dpp v145, v248, v145 quad_perm:[1,1,1,1] row_mask:0xf bank_mask:0xf// 000000021A00: 0B2322FA FF0055F8
	v_mul_f32_dpp v146, v248, v146 quad_perm:[2,2,2,2] row_mask:0xf bank_mask:0xf// 000000021A08: 0B2524FA FF00AAF8
	v_mul_f32_dpp v147, v248, v147 quad_perm:[3,3,3,3] row_mask:0xf bank_mask:0xf// 000000021A10: 0B2726FA FF00FFF8
	v_mul_f32_dpp v148, v249, v148 quad_perm:[0,0,0,0] row_mask:0xf bank_mask:0xf// 000000021A18: 0B2928FA FF0000F9
	v_mul_f32_dpp v149, v249, v149 quad_perm:[1,1,1,1] row_mask:0xf bank_mask:0xf// 000000021A20: 0B2B2AFA FF0055F9
	v_mul_f32_dpp v150, v249, v150 quad_perm:[2,2,2,2] row_mask:0xf bank_mask:0xf// 000000021A28: 0B2D2CFA FF00AAF9
	v_mul_f32_dpp v151, v249, v151 quad_perm:[3,3,3,3] row_mask:0xf bank_mask:0xf// 000000021A30: 0B2F2EFA FF00FFF9
	v_mul_f32_dpp v152, v250, v152 quad_perm:[0,0,0,0] row_mask:0xf bank_mask:0xf// 000000021A38: 0B3130FA FF0000FA
	v_mul_f32_dpp v153, v250, v153 quad_perm:[1,1,1,1] row_mask:0xf bank_mask:0xf// 000000021A40: 0B3332FA FF0055FA
	v_mul_f32_dpp v154, v250, v154 quad_perm:[2,2,2,2] row_mask:0xf bank_mask:0xf// 000000021A48: 0B3534FA FF00AAFA
	v_mul_f32_dpp v155, v250, v155 quad_perm:[3,3,3,3] row_mask:0xf bank_mask:0xf// 000000021A50: 0B3736FA FF00FFFA
	v_mul_f32_dpp v156, v251, v156 quad_perm:[0,0,0,0] row_mask:0xf bank_mask:0xf// 000000021A58: 0B3938FA FF0000FB
	v_mul_f32_dpp v157, v251, v157 quad_perm:[1,1,1,1] row_mask:0xf bank_mask:0xf// 000000021A60: 0B3B3AFA FF0055FB
	v_mul_f32_dpp v158, v251, v158 quad_perm:[2,2,2,2] row_mask:0xf bank_mask:0xf// 000000021A68: 0B3D3CFA FF00AAFB
	v_mul_f32_dpp v159, v251, v159 quad_perm:[3,3,3,3] row_mask:0xf bank_mask:0xf// 000000021A70: 0B3F3EFA FF00FFFB
	s_cmp_le_i32 s90, s89                                      // 000000021A78: BF05595A
	s_cbranch_scc1 label_7E91                                  // 000000021A7C: BF850071
	v_mov_b32_e32 v66, 0xff800000                              // 000000021A80: 7E8402FF FF800000
	s_mov_b32 s60, s90                                         // 000000021A88: BEBC005A
	s_add_u32 s61, s89, 0xff                                   // 000000021A8C: 803DFF59 000000FF
	v_mov_b32_e32 v64, s61                                     // 000000021A94: 7E80023D
	v_lshrrev_b32_e32 v240, 4, v0                              // 000000021A98: 21E00084
	v_mul_i32_i24_e32 v240, 4, v240                            // 000000021A9C: 0DE1E084
	v_add_u32_e32 v240, s60, v240                              // 000000021AA0: 69E1E03C
	s_mov_b32 s61, 2                                           // 000000021AA4: BEBD0082
	s_mul_i32 s60, 16, s7                                      // 000000021AA8: 923C0790
	v_sub_u32_e64 v240, v240, s61                              // 000000021AAC: D13500F0 00007BF0
	v_add_u32_e32 v240, s60, v240                              // 000000021AB4: 69E1E03C
	v_add_u32_e32 v241, 1, v240                                // 000000021AB8: 69E3E081
	v_add_u32_e32 v242, 2, v240                                // 000000021ABC: 69E5E082
	v_add_u32_e32 v243, 3, v240                                // 000000021AC0: 69E7E083
	v_cmp_le_u32_e64 s[40:41], v240, v64                       // 000000021AC4: D0CB0028 000281F0
	v_add_u32_e32 v240, 64, v240                               // 000000021ACC: 69E1E0C0
	s_nop 0                                                    // 000000021AD0: BF800000
	v_cndmask_b32_e64 v144, v66, v144, s[40:41]                // 000000021AD4: D1000090 00A32142
	v_cmp_le_u32_e64 s[40:41], v241, v64                       // 000000021ADC: D0CB0028 000281F1
	v_add_u32_e32 v241, 64, v241                               // 000000021AE4: 69E3E2C0
	s_nop 0                                                    // 000000021AE8: BF800000
	v_cndmask_b32_e64 v145, v66, v145, s[40:41]                // 000000021AEC: D1000091 00A32342
	v_cmp_le_u32_e64 s[40:41], v242, v64                       // 000000021AF4: D0CB0028 000281F2
	v_add_u32_e32 v242, 64, v242                               // 000000021AFC: 69E5E4C0
	s_nop 0                                                    // 000000021B00: BF800000
	v_cndmask_b32_e64 v146, v66, v146, s[40:41]                // 000000021B04: D1000092 00A32542
	v_cmp_le_u32_e64 s[40:41], v243, v64                       // 000000021B0C: D0CB0028 000281F3
	v_add_u32_e32 v243, 64, v243                               // 000000021B14: 69E7E6C0
	s_nop 0                                                    // 000000021B18: BF800000
	v_cndmask_b32_e64 v147, v66, v147, s[40:41]                // 000000021B1C: D1000093 00A32742
	v_cmp_le_u32_e64 s[40:41], v240, v64                       // 000000021B24: D0CB0028 000281F0
	v_add_u32_e32 v240, 64, v240                               // 000000021B2C: 69E1E0C0
	s_nop 0                                                    // 000000021B30: BF800000
	v_cndmask_b32_e64 v148, v66, v148, s[40:41]                // 000000021B34: D1000094 00A32942
	v_cmp_le_u32_e64 s[40:41], v241, v64                       // 000000021B3C: D0CB0028 000281F1
	v_add_u32_e32 v241, 64, v241                               // 000000021B44: 69E3E2C0
	s_nop 0                                                    // 000000021B48: BF800000
	v_cndmask_b32_e64 v149, v66, v149, s[40:41]                // 000000021B4C: D1000095 00A32B42
	v_cmp_le_u32_e64 s[40:41], v242, v64                       // 000000021B54: D0CB0028 000281F2
	v_add_u32_e32 v242, 64, v242                               // 000000021B5C: 69E5E4C0
	s_nop 0                                                    // 000000021B60: BF800000
	v_cndmask_b32_e64 v150, v66, v150, s[40:41]                // 000000021B64: D1000096 00A32D42
	v_cmp_le_u32_e64 s[40:41], v243, v64                       // 000000021B6C: D0CB0028 000281F3
	v_add_u32_e32 v243, 64, v243                               // 000000021B74: 69E7E6C0
	s_nop 0                                                    // 000000021B78: BF800000
	v_cndmask_b32_e64 v151, v66, v151, s[40:41]                // 000000021B7C: D1000097 00A32F42
	v_cmp_le_u32_e64 s[40:41], v240, v64                       // 000000021B84: D0CB0028 000281F0
	v_add_u32_e32 v240, 64, v240                               // 000000021B8C: 69E1E0C0
	s_nop 0                                                    // 000000021B90: BF800000
	v_cndmask_b32_e64 v152, v66, v152, s[40:41]                // 000000021B94: D1000098 00A33142
	v_cmp_le_u32_e64 s[40:41], v241, v64                       // 000000021B9C: D0CB0028 000281F1
	v_add_u32_e32 v241, 64, v241                               // 000000021BA4: 69E3E2C0
	s_nop 0                                                    // 000000021BA8: BF800000
	v_cndmask_b32_e64 v153, v66, v153, s[40:41]                // 000000021BAC: D1000099 00A33342
	v_cmp_le_u32_e64 s[40:41], v242, v64                       // 000000021BB4: D0CB0028 000281F2
	v_add_u32_e32 v242, 64, v242                               // 000000021BBC: 69E5E4C0
	s_nop 0                                                    // 000000021BC0: BF800000
	v_cndmask_b32_e64 v154, v66, v154, s[40:41]                // 000000021BC4: D100009A 00A33542
	v_cmp_le_u32_e64 s[40:41], v243, v64                       // 000000021BCC: D0CB0028 000281F3
	v_add_u32_e32 v243, 64, v243                               // 000000021BD4: 69E7E6C0
	s_nop 0                                                    // 000000021BD8: BF800000
	v_cndmask_b32_e64 v155, v66, v155, s[40:41]                // 000000021BDC: D100009B 00A33742
	v_cmp_le_u32_e64 s[40:41], v240, v64                       // 000000021BE4: D0CB0028 000281F0
	v_add_u32_e32 v240, 64, v240                               // 000000021BEC: 69E1E0C0
	s_nop 0                                                    // 000000021BF0: BF800000
	v_cndmask_b32_e64 v156, v66, v156, s[40:41]                // 000000021BF4: D100009C 00A33942
	v_cmp_le_u32_e64 s[40:41], v241, v64                       // 000000021BFC: D0CB0028 000281F1
	v_add_u32_e32 v241, 64, v241                               // 000000021C04: 69E3E2C0
	s_nop 0                                                    // 000000021C08: BF800000
	v_cndmask_b32_e64 v157, v66, v157, s[40:41]                // 000000021C0C: D100009D 00A33B42
	v_cmp_le_u32_e64 s[40:41], v242, v64                       // 000000021C14: D0CB0028 000281F2
	v_add_u32_e32 v242, 64, v242                               // 000000021C1C: 69E5E4C0
	s_nop 0                                                    // 000000021C20: BF800000
	v_cndmask_b32_e64 v158, v66, v158, s[40:41]                // 000000021C24: D100009E 00A33D42
	v_cmp_le_u32_e64 s[40:41], v243, v64                       // 000000021C2C: D0CB0028 000281F3
	v_add_u32_e32 v243, 64, v243                               // 000000021C34: 69E7E6C0
	s_nop 0                                                    // 000000021C38: BF800000
	v_cndmask_b32_e64 v159, v66, v159, s[40:41]                // 000000021C3C: D100009F 00A33F42

0000000000021c44 <label_7E91>:
	v_mov_b32_e32 v48, v144                                    // 000000021C44: 7E600390
	v_max3_f32 v48, v144, v145, v48                            // 000000021C48: D1D30030 04C32390
	v_max3_f32 v48, v146, v147, v48                            // 000000021C50: D1D30030 04C32792
	v_max3_f32 v48, v148, v149, v48                            // 000000021C58: D1D30030 04C32B94
	v_max3_f32 v48, v150, v151, v48                            // 000000021C60: D1D30030 04C32F96
	v_max3_f32 v48, v152, v153, v48                            // 000000021C68: D1D30030 04C33398
	v_max3_f32 v48, v154, v155, v48                            // 000000021C70: D1D30030 04C3379A
	v_max3_f32 v48, v156, v157, v48                            // 000000021C78: D1D30030 04C33B9C
	v_max3_f32 v48, v158, v159, v48                            // 000000021C80: D1D30030 04C33F9E
	ds_write_b32 v8, v48 offset:16896                          // 000000021C88: D81A4200 00003008
	v_mul_f32_e32 v224, v51, v224                              // 000000021C90: 0BC1C133
	v_mul_f32_e32 v225, v51, v225                              // 000000021C94: 0BC3C333
	v_mul_f32_e32 v226, v51, v226                              // 000000021C98: 0BC5C533
	v_mul_f32_e32 v227, v51, v227                              // 000000021C9C: 0BC7C733
	v_mul_f32_e32 v228, v51, v228                              // 000000021CA0: 0BC9C933
	v_mul_f32_e32 v229, v51, v229                              // 000000021CA4: 0BCBCB33
	v_mul_f32_e32 v230, v51, v230                              // 000000021CA8: 0BCDCD33
	v_mul_f32_e32 v231, v51, v231                              // 000000021CAC: 0BCFCF33
	s_waitcnt lgkmcnt(0)                                       // 000000021CB0: BF8CC07F
	s_barrier                                                  // 000000021CB4: BF8A0000
	ds_read_b32 v64, v7 offset:16896                           // 000000021CB8: D86C4200 40000007
	ds_read_b32 v65, v7 offset:16960                           // 000000021CC0: D86C4240 41000007
	ds_read_b32 v66, v7 offset:17024                           // 000000021CC8: D86C4280 42000007
	ds_read_b32 v67, v7 offset:17088                           // 000000021CD0: D86C42C0 43000007
	ds_read_b32 v68, v7 offset:17152                           // 000000021CD8: D86C4300 44000007
	ds_read_b32 v69, v7 offset:17216                           // 000000021CE0: D86C4340 45000007
	ds_read_b32 v70, v7 offset:17280                           // 000000021CE8: D86C4380 46000007
	ds_read_b32 v71, v7 offset:17344                           // 000000021CF0: D86C43C0 47000007
	ds_read_b32 v72, v7 offset:17408                           // 000000021CF8: D86C4400 48000007
	ds_read_b32 v73, v7 offset:17472                           // 000000021D00: D86C4440 49000007
	ds_read_b32 v74, v7 offset:17536                           // 000000021D08: D86C4480 4A000007
	ds_read_b32 v75, v7 offset:17600                           // 000000021D10: D86C44C0 4B000007
	ds_read_b32 v76, v7 offset:17664                           // 000000021D18: D86C4500 4C000007
	ds_read_b32 v77, v7 offset:17728                           // 000000021D20: D86C4540 4D000007
	ds_read_b32 v78, v7 offset:17792                           // 000000021D28: D86C4580 4E000007
	ds_read_b32 v79, v7 offset:17856                           // 000000021D30: D86C45C0 4F000007
	v_mul_f32_e32 v192, v46, v192                              // 000000021D38: 0B81812E
	v_mul_f32_e32 v193, v46, v193                              // 000000021D3C: 0B83832E
	v_mul_f32_e32 v194, v46, v194                              // 000000021D40: 0B85852E
	v_mul_f32_e32 v195, v46, v195                              // 000000021D44: 0B87872E
	v_mul_f32_e32 v196, v46, v196                              // 000000021D48: 0B89892E
	v_mul_f32_e32 v197, v46, v197                              // 000000021D4C: 0B8B8B2E
	v_mul_f32_e32 v198, v46, v198                              // 000000021D50: 0B8D8D2E
	v_mul_f32_e32 v199, v46, v199                              // 000000021D54: 0B8F8F2E
	s_waitcnt lgkmcnt(0)                                       // 000000021D58: BF8CC07F
	v_max3_f32 v48, v64, v65, v48                              // 000000021D5C: D1D30030 04C28340
	v_max3_f32 v48, v66, v67, v48                              // 000000021D64: D1D30030 04C28742
	v_max3_f32 v48, v68, v69, v48                              // 000000021D6C: D1D30030 04C28B44
	v_max3_f32 v48, v70, v71, v48                              // 000000021D74: D1D30030 04C28F46
	v_max3_f32 v48, v72, v73, v48                              // 000000021D7C: D1D30030 04C29348
	v_max3_f32 v48, v74, v75, v48                              // 000000021D84: D1D30030 04C2974A
	v_max3_f32 v48, v76, v77, v48                              // 000000021D8C: D1D30030 04C29B4C
	v_max3_f32 v48, v78, v79, v48                              // 000000021D94: D1D30030 04C29F4E
	v_mov_b32_e32 v64, 0xff800000                              // 000000021D9C: 7E8002FF FF800000
	v_cmp_eq_u32_e64 s[40:41], v64, v13                        // 000000021DA4: D0CA0028 00021B40
	s_nop 1                                                    // 000000021DAC: BF800001
	v_max_f32_e32 v15, v48, v13                                // 000000021DB0: 161E1B30
	v_mul_f32_e32 v53, s64, v15                                // 000000021DB4: 0A6A1E40
	v_fma_f32 v144, v144, s64, -v53                            // 000000021DB8: D1CB0090 84D48190
	v_fma_f32 v145, v145, s64, -v53                            // 000000021DC0: D1CB0091 84D48191
	v_fma_f32 v146, v146, s64, -v53                            // 000000021DC8: D1CB0092 84D48192
	v_fma_f32 v147, v147, s64, -v53                            // 000000021DD0: D1CB0093 84D48193
	v_fma_f32 v148, v148, s64, -v53                            // 000000021DD8: D1CB0094 84D48194
	v_fma_f32 v149, v149, s64, -v53                            // 000000021DE0: D1CB0095 84D48195
	v_fma_f32 v150, v150, s64, -v53                            // 000000021DE8: D1CB0096 84D48196
	v_fma_f32 v151, v151, s64, -v53                            // 000000021DF0: D1CB0097 84D48197
	v_fma_f32 v152, v152, s64, -v53                            // 000000021DF8: D1CB0098 84D48198
	v_fma_f32 v153, v153, s64, -v53                            // 000000021E00: D1CB0099 84D48199
	v_fma_f32 v154, v154, s64, -v53                            // 000000021E08: D1CB009A 84D4819A
	v_fma_f32 v155, v155, s64, -v53                            // 000000021E10: D1CB009B 84D4819B
	v_fma_f32 v156, v156, s64, -v53                            // 000000021E18: D1CB009C 84D4819C
	v_fma_f32 v157, v157, s64, -v53                            // 000000021E20: D1CB009D 84D4819D
	v_fma_f32 v158, v158, s64, -v53                            // 000000021E28: D1CB009E 84D4819E
	v_fma_f32 v159, v159, s64, -v53                            // 000000021E30: D1CB009F 84D4819F
	v_exp_f32_e32 v144, v144                                   // 000000021E38: 7F204190
	v_exp_f32_e32 v145, v145                                   // 000000021E3C: 7F224191
	v_exp_f32_e32 v146, v146                                   // 000000021E40: 7F244192
	v_exp_f32_e32 v147, v147                                   // 000000021E44: 7F264193
	v_exp_f32_e32 v148, v148                                   // 000000021E48: 7F284194
	v_exp_f32_e32 v149, v149                                   // 000000021E4C: 7F2A4195
	v_exp_f32_e32 v150, v150                                   // 000000021E50: 7F2C4196
	v_exp_f32_e32 v151, v151                                   // 000000021E54: 7F2E4197
	v_exp_f32_e32 v152, v152                                   // 000000021E58: 7F304198
	v_exp_f32_e32 v153, v153                                   // 000000021E5C: 7F324199
	v_exp_f32_e32 v154, v154                                   // 000000021E60: 7F34419A
	v_exp_f32_e32 v155, v155                                   // 000000021E64: 7F36419B
	v_exp_f32_e32 v156, v156                                   // 000000021E68: 7F38419C
	v_exp_f32_e32 v157, v157                                   // 000000021E6C: 7F3A419D
	v_exp_f32_e32 v158, v158                                   // 000000021E70: 7F3C419E
	v_exp_f32_e32 v159, v159                                   // 000000021E74: 7F3E419F
	v_mul_f32_dpp v240, v252, v144 quad_perm:[0,0,0,0] row_mask:0xf bank_mask:0xf// 000000021E78: 0BE120FA FF0000FC
	v_mul_f32_dpp v241, v252, v145 quad_perm:[1,1,1,1] row_mask:0xf bank_mask:0xf// 000000021E80: 0BE322FA FF0055FC
	v_mul_f32_dpp v242, v252, v146 quad_perm:[2,2,2,2] row_mask:0xf bank_mask:0xf// 000000021E88: 0BE524FA FF00AAFC
	v_mul_f32_dpp v243, v252, v147 quad_perm:[3,3,3,3] row_mask:0xf bank_mask:0xf// 000000021E90: 0BE726FA FF00FFFC
	v_mul_f32_dpp v244, v253, v148 quad_perm:[0,0,0,0] row_mask:0xf bank_mask:0xf// 000000021E98: 0BE928FA FF0000FD
	v_mul_f32_dpp v245, v253, v149 quad_perm:[1,1,1,1] row_mask:0xf bank_mask:0xf// 000000021EA0: 0BEB2AFA FF0055FD
	v_mul_f32_dpp v246, v253, v150 quad_perm:[2,2,2,2] row_mask:0xf bank_mask:0xf// 000000021EA8: 0BED2CFA FF00AAFD
	v_mul_f32_dpp v247, v253, v151 quad_perm:[3,3,3,3] row_mask:0xf bank_mask:0xf// 000000021EB0: 0BEF2EFA FF00FFFD
	v_mul_f32_dpp v248, v254, v152 quad_perm:[0,0,0,0] row_mask:0xf bank_mask:0xf// 000000021EB8: 0BF130FA FF0000FE
	v_mul_f32_dpp v249, v254, v153 quad_perm:[1,1,1,1] row_mask:0xf bank_mask:0xf// 000000021EC0: 0BF332FA FF0055FE
	v_mul_f32_dpp v250, v254, v154 quad_perm:[2,2,2,2] row_mask:0xf bank_mask:0xf// 000000021EC8: 0BF534FA FF00AAFE
	v_mul_f32_dpp v251, v254, v155 quad_perm:[3,3,3,3] row_mask:0xf bank_mask:0xf// 000000021ED0: 0BF736FA FF00FFFE
	v_mul_f32_dpp v252, v255, v156 quad_perm:[0,0,0,0] row_mask:0xf bank_mask:0xf// 000000021ED8: 0BF938FA FF0000FF
	v_mul_f32_dpp v253, v255, v157 quad_perm:[1,1,1,1] row_mask:0xf bank_mask:0xf// 000000021EE0: 0BFB3AFA FF0055FF
	v_mul_f32_dpp v254, v255, v158 quad_perm:[2,2,2,2] row_mask:0xf bank_mask:0xf// 000000021EE8: 0BFD3CFA FF00AAFF
	v_mul_f32_dpp v255, v255, v159 quad_perm:[3,3,3,3] row_mask:0xf bank_mask:0xf// 000000021EF0: 0BFF3EFA FF00FFFF
	v_mov_b32_e32 v48, 0x358637bd                              // 000000021EF8: 7E6002FF 358637BD
	v_max3_f32 v48, |v240|, |v241|, v48                        // 000000021F00: D1D30330 04C3E3F0
	v_max3_f32 v48, |v242|, |v243|, v48                        // 000000021F08: D1D30330 04C3E7F2
	v_max3_f32 v48, |v244|, |v245|, v48                        // 000000021F10: D1D30330 04C3EBF4
	v_max3_f32 v48, |v246|, |v247|, v48                        // 000000021F18: D1D30330 04C3EFF6
	v_max3_f32 v48, |v248|, |v249|, v48                        // 000000021F20: D1D30330 04C3F3F8
	v_max3_f32 v48, |v250|, |v251|, v48                        // 000000021F28: D1D30330 04C3F7FA
	v_max3_f32 v48, |v252|, |v253|, v48                        // 000000021F30: D1D30330 04C3FBFC
	v_max3_f32 v48, |v254|, |v255|, v48                        // 000000021F38: D1D30330 04C3FFFE
	ds_write_b32 v8, v48 offset:20992                          // 000000021F40: D81A5200 00003008
	v_sub_f32_e32 v51, v13, v15                                // 000000021F48: 04661F0D
	v_cndmask_b32_e64 v51, v51, 0, s[40:41]                    // 000000021F4C: D1000033 00A10133
	v_mov_b32_e32 v13, v15                                     // 000000021F54: 7E1A030F
	v_mul_f32_e32 v51, s64, v51                                // 000000021F58: 0A666640
	v_exp_f32_e32 v51, v51                                     // 000000021F5C: 7E664133
	s_waitcnt lgkmcnt(0)                                       // 000000021F60: BF8CC07F
	s_barrier                                                  // 000000021F64: BF8A0000
	ds_read_b32 v64, v7 offset:20992                           // 000000021F68: D86C5200 40000007
	ds_read_b32 v65, v7 offset:21056                           // 000000021F70: D86C5240 41000007
	ds_read_b32 v66, v7 offset:21120                           // 000000021F78: D86C5280 42000007
	ds_read_b32 v67, v7 offset:21184                           // 000000021F80: D86C52C0 43000007
	ds_read_b32 v68, v7 offset:21248                           // 000000021F88: D86C5300 44000007
	ds_read_b32 v69, v7 offset:21312                           // 000000021F90: D86C5340 45000007
	ds_read_b32 v70, v7 offset:21376                           // 000000021F98: D86C5380 46000007
	ds_read_b32 v71, v7 offset:21440                           // 000000021FA0: D86C53C0 47000007
	ds_read_b32 v72, v7 offset:21504                           // 000000021FA8: D86C5400 48000007
	ds_read_b32 v73, v7 offset:21568                           // 000000021FB0: D86C5440 49000007
	ds_read_b32 v74, v7 offset:21632                           // 000000021FB8: D86C5480 4A000007
	ds_read_b32 v75, v7 offset:21696                           // 000000021FC0: D86C54C0 4B000007
	ds_read_b32 v76, v7 offset:21760                           // 000000021FC8: D86C5500 4C000007
	ds_read_b32 v77, v7 offset:21824                           // 000000021FD0: D86C5540 4D000007
	ds_read_b32 v78, v7 offset:21888                           // 000000021FD8: D86C5580 4E000007
	ds_read_b32 v79, v7 offset:21952                           // 000000021FE0: D86C55C0 4F000007
	v_mul_f32_e32 v40, v51, v40                                // 000000021FE8: 0A505133
	v_mov_b32_e32 v15, v144                                    // 000000021FEC: 7E1E0390
	v_add_f32_e32 v15, v145, v15                               // 000000021FF0: 021E1F91
	v_add_f32_e32 v15, v146, v15                               // 000000021FF4: 021E1F92
	v_add_f32_e32 v15, v147, v15                               // 000000021FF8: 021E1F93
	v_add_f32_e32 v15, v148, v15                               // 000000021FFC: 021E1F94
	v_add_f32_e32 v15, v149, v15                               // 000000022000: 021E1F95
	v_add_f32_e32 v15, v150, v15                               // 000000022004: 021E1F96
	v_add_f32_e32 v15, v151, v15                               // 000000022008: 021E1F97
	v_add_f32_e32 v15, v152, v15                               // 00000002200C: 021E1F98
	v_add_f32_e32 v15, v153, v15                               // 000000022010: 021E1F99
	v_add_f32_e32 v15, v154, v15                               // 000000022014: 021E1F9A
	v_add_f32_e32 v15, v155, v15                               // 000000022018: 021E1F9B
	v_add_f32_e32 v15, v156, v15                               // 00000002201C: 021E1F9C
	v_add_f32_e32 v15, v157, v15                               // 000000022020: 021E1F9D
	v_add_f32_e32 v15, v158, v15                               // 000000022024: 021E1F9E
	v_add_f32_e32 v15, v159, v15                               // 000000022028: 021E1F9F
	v_add_f32_e32 v40, v15, v40                                // 00000002202C: 0250510F
	s_waitcnt lgkmcnt(0)                                       // 000000022030: BF8CC07F
	v_max3_f32 v48, |v64|, |v65|, v48                          // 000000022034: D1D30330 04C28340
	v_max3_f32 v48, |v66|, |v67|, v48                          // 00000002203C: D1D30330 04C28742
	v_max3_f32 v48, |v68|, |v69|, v48                          // 000000022044: D1D30330 04C28B44
	v_max3_f32 v48, |v70|, |v71|, v48                          // 00000002204C: D1D30330 04C28F46
	v_max3_f32 v48, |v72|, |v73|, v48                          // 000000022054: D1D30330 04C29348
	v_max3_f32 v48, |v74|, |v75|, v48                          // 00000002205C: D1D30330 04C2974A
	v_max3_f32 v48, |v76|, |v77|, v48                          // 000000022064: D1D30330 04C29B4C
	v_max3_f32 v48, |v78|, |v79|, v48                          // 00000002206C: D1D30330 04C29F4E
	s_nop 2                                                    // 000000022074: BF800002
	v_rcp_f32_e32 v48, v48                                     // 000000022078: 7E604530
	s_nop 1                                                    // 00000002207C: BF800001
	v_mul_f32_e32 v48, 0x43700000, v48                         // 000000022080: 0A6060FF 43700000
	v_mul_f32_e32 v144, v48, v240                              // 000000022088: 0B21E130
	v_mul_f32_e32 v145, v48, v241                              // 00000002208C: 0B23E330
	v_mul_f32_e32 v146, v48, v242                              // 000000022090: 0B25E530
	v_mul_f32_e32 v147, v48, v243                              // 000000022094: 0B27E730
	v_mul_f32_e32 v148, v48, v244                              // 000000022098: 0B29E930
	v_mul_f32_e32 v149, v48, v245                              // 00000002209C: 0B2BEB30
	v_mul_f32_e32 v150, v48, v246                              // 0000000220A0: 0B2DED30
	v_mul_f32_e32 v151, v48, v247                              // 0000000220A4: 0B2FEF30
	v_mul_f32_e32 v152, v48, v248                              // 0000000220A8: 0B31F130
	v_mul_f32_e32 v153, v48, v249                              // 0000000220AC: 0B33F330
	v_mul_f32_e32 v154, v48, v250                              // 0000000220B0: 0B35F530
	v_mul_f32_e32 v155, v48, v251                              // 0000000220B4: 0B37F730
	v_mul_f32_e32 v156, v48, v252                              // 0000000220B8: 0B39F930
	v_mul_f32_e32 v157, v48, v253                              // 0000000220BC: 0B3BFB30
	v_mul_f32_e32 v158, v48, v254                              // 0000000220C0: 0B3DFD30
	v_mul_f32_e32 v159, v48, v255                              // 0000000220C4: 0B3FFF30
	v_cvt_pk_fp8_f32 v144, v144, v145                          // 0000000220C8: D2A20090 00032390
	v_cvt_pk_fp8_f32 v144, v146, v147 op_sel:[0,0,1]           // 0000000220D0: D2A24090 00032792
	v_cvt_pk_fp8_f32 v145, v148, v149                          // 0000000220D8: D2A20091 00032B94
	v_cvt_pk_fp8_f32 v145, v150, v151 op_sel:[0,0,1]           // 0000000220E0: D2A24091 00032F96
	v_cvt_pk_fp8_f32 v146, v152, v153                          // 0000000220E8: D2A20092 00033398
	v_cvt_pk_fp8_f32 v146, v154, v155 op_sel:[0,0,1]           // 0000000220F0: D2A24092 0003379A
	v_cvt_pk_fp8_f32 v147, v156, v157                          // 0000000220F8: D2A20093 00033B9C
	v_cvt_pk_fp8_f32 v147, v158, v159 op_sel:[0,0,1]           // 000000022100: D2A24093 00033F9E
	ds_write_b32 v10, v144 offset:33280                        // 000000022108: D81A8200 0000900A
	ds_write_b32 v10, v145 offset:34304                        // 000000022110: D81A8600 0000910A
	ds_write_b32 v10, v146 offset:35328                        // 000000022118: D81A8A00 0000920A
	ds_write_b32 v10, v147 offset:36352                        // 000000022120: D81A8E00 0000930A
	v_add_f32_e32 v224, v224, v192                             // 000000022128: 03C181E0
	v_add_f32_e32 v225, v225, v193                             // 00000002212C: 03C383E1
	v_add_f32_e32 v226, v226, v194                             // 000000022130: 03C585E2
	v_add_f32_e32 v227, v227, v195                             // 000000022134: 03C787E3
	v_add_f32_e32 v228, v228, v196                             // 000000022138: 03C989E4
	v_add_f32_e32 v229, v229, v197                             // 00000002213C: 03CB8BE5
	v_add_f32_e32 v230, v230, v198                             // 000000022140: 03CD8DE6
	v_add_f32_e32 v231, v231, v199                             // 000000022144: 03CF8FE7
	v_rcp_f32_e32 v46, v48                                     // 000000022148: 7E5C4530
	s_waitcnt lgkmcnt(0)                                       // 00000002214C: BF8CC07F
	s_barrier                                                  // 000000022150: BF8A0000
	ds_read_b64 v[144:145], v9 offset:33280                    // 000000022154: D8EC8200 90000009
	ds_read_b64 v[146:147], v9 offset:33408                    // 00000002215C: D8EC8280 92000009
	ds_read_b64 v[148:149], v9 offset:34304                    // 000000022164: D8EC8600 94000009
	ds_read_b64 v[150:151], v9 offset:34432                    // 00000002216C: D8EC8680 96000009
	ds_read_b64 v[152:153], v9 offset:35328                    // 000000022174: D8EC8A00 98000009
	ds_read_b64 v[154:155], v9 offset:35456                    // 00000002217C: D8EC8A80 9A000009
	ds_read_b64 v[156:157], v9 offset:36352                    // 000000022184: D8EC8E00 9C000009
	ds_read_b64 v[158:159], v9 offset:36480                    // 00000002218C: D8EC8E80 9E000009
	v_mov_b32_dpp v64, v43 row_shr:4 row_mask:0xf bank_mask:0xf// 000000022194: 7E8002FA FF01142B
	v_mov_b32_dpp v65, v43 row_shl:4 row_mask:0xf bank_mask:0xf// 00000002219C: 7E8202FA FF01042B
	v_cndmask_b32_e64 v248, v43, v64, s[44:45]                 // 0000000221A4: D10000F8 00B2812B
	v_cndmask_b32_e64 v249, v65, v43, s[44:45]                 // 0000000221AC: D10000F9 00B25741
	v_mov_b32_dpp v64, v248 row_shr:8 row_mask:0xf bank_mask:0xf// 0000000221B4: 7E8002FA FF0118F8
	v_mov_b32_dpp v65, v248 row_shl:8 row_mask:0xf bank_mask:0xf// 0000000221BC: 7E8202FA FF0108F8
	v_mov_b32_dpp v66, v249 row_shr:8 row_mask:0xf bank_mask:0xf// 0000000221C4: 7E8402FA FF0118F9
	v_mov_b32_dpp v67, v249 row_shl:8 row_mask:0xf bank_mask:0xf// 0000000221CC: 7E8602FA FF0108F9
	v_mov_b32_e32 v68, v248                                    // 0000000221D4: 7E8803F8
	v_mov_b32_e32 v69, v249                                    // 0000000221D8: 7E8A03F9
	v_cndmask_b32_e64 v248, v68, v64, s[42:43]                 // 0000000221DC: D10000F8 00AA8144
	v_cndmask_b32_e64 v250, v68, v65, s[78:79]                 // 0000000221E4: D10000FA 013A8344
	v_cndmask_b32_e64 v249, v69, v66, s[42:43]                 // 0000000221EC: D10000F9 00AA8545
	v_cndmask_b32_e64 v251, v69, v67, s[78:79]                 // 0000000221F4: D10000FB 013A8745
	v_mov_b32_dpp v64, v58 row_shr:4 row_mask:0xf bank_mask:0xf// 0000000221FC: 7E8002FA FF01143A
	v_mov_b32_dpp v65, v58 row_shl:4 row_mask:0xf bank_mask:0xf// 000000022204: 7E8202FA FF01043A
	v_cndmask_b32_e64 v252, v58, v64, s[44:45]                 // 00000002220C: D10000FC 00B2813A
	v_cndmask_b32_e64 v253, v65, v58, s[44:45]                 // 000000022214: D10000FD 00B27541
	v_mov_b32_dpp v64, v252 row_shr:8 row_mask:0xf bank_mask:0xf// 00000002221C: 7E8002FA FF0118FC
	v_mov_b32_dpp v65, v252 row_shl:8 row_mask:0xf bank_mask:0xf// 000000022224: 7E8202FA FF0108FC
	v_mov_b32_dpp v66, v253 row_shr:8 row_mask:0xf bank_mask:0xf// 00000002222C: 7E8402FA FF0118FD
	v_mov_b32_dpp v67, v253 row_shl:8 row_mask:0xf bank_mask:0xf// 000000022234: 7E8602FA FF0108FD
	v_mov_b32_e32 v68, v252                                    // 00000002223C: 7E8803FC
	v_mov_b32_e32 v69, v253                                    // 000000022240: 7E8A03FD
	v_cndmask_b32_e64 v252, v68, v64, s[42:43]                 // 000000022244: D10000FC 00AA8144
	v_cndmask_b32_e64 v254, v68, v65, s[78:79]                 // 00000002224C: D10000FE 013A8344
	v_cndmask_b32_e64 v253, v69, v66, s[42:43]                 // 000000022254: D10000FD 00AA8545
	v_cndmask_b32_e64 v255, v69, v67, s[78:79]                 // 00000002225C: D10000FF 013A8745
	v_mul_f32_e32 v160, v21, v160                              // 000000022264: 0B414115
	v_mul_f32_e32 v161, v21, v161                              // 000000022268: 0B434315
	v_mul_f32_e32 v162, v21, v162                              // 00000002226C: 0B454515
	v_mul_f32_e32 v163, v21, v163                              // 000000022270: 0B474715
	v_mul_f32_e32 v164, v21, v164                              // 000000022274: 0B494915
	v_mul_f32_e32 v165, v21, v165                              // 000000022278: 0B4B4B15
	v_mul_f32_e32 v166, v21, v166                              // 00000002227C: 0B4D4D15
	v_mul_f32_e32 v167, v21, v167                              // 000000022280: 0B4F4F15
	v_mul_f32_e32 v168, v21, v168                              // 000000022284: 0B515115
	v_mul_f32_e32 v169, v21, v169                              // 000000022288: 0B535315
	v_mul_f32_e32 v170, v21, v170                              // 00000002228C: 0B555515
	v_mul_f32_e32 v171, v21, v171                              // 000000022290: 0B575715
	v_mul_f32_e32 v172, v21, v172                              // 000000022294: 0B595915
	v_mul_f32_e32 v173, v21, v173                              // 000000022298: 0B5B5B15
	v_mul_f32_e32 v174, v21, v174                              // 00000002229C: 0B5D5D15
	v_mul_f32_e32 v175, v21, v175                              // 0000000222A0: 0B5F5F15
	v_mul_f32_dpp v160, v248, v160 quad_perm:[0,0,0,0] row_mask:0xf bank_mask:0xf// 0000000222A4: 0B4140FA FF0000F8
	v_mul_f32_dpp v161, v248, v161 quad_perm:[1,1,1,1] row_mask:0xf bank_mask:0xf// 0000000222AC: 0B4342FA FF0055F8
	v_mul_f32_dpp v162, v248, v162 quad_perm:[2,2,2,2] row_mask:0xf bank_mask:0xf// 0000000222B4: 0B4544FA FF00AAF8
	v_mul_f32_dpp v163, v248, v163 quad_perm:[3,3,3,3] row_mask:0xf bank_mask:0xf// 0000000222BC: 0B4746FA FF00FFF8
	v_mul_f32_dpp v164, v249, v164 quad_perm:[0,0,0,0] row_mask:0xf bank_mask:0xf// 0000000222C4: 0B4948FA FF0000F9
	v_mul_f32_dpp v165, v249, v165 quad_perm:[1,1,1,1] row_mask:0xf bank_mask:0xf// 0000000222CC: 0B4B4AFA FF0055F9
	v_mul_f32_dpp v166, v249, v166 quad_perm:[2,2,2,2] row_mask:0xf bank_mask:0xf// 0000000222D4: 0B4D4CFA FF00AAF9
	v_mul_f32_dpp v167, v249, v167 quad_perm:[3,3,3,3] row_mask:0xf bank_mask:0xf// 0000000222DC: 0B4F4EFA FF00FFF9
	v_mul_f32_dpp v168, v250, v168 quad_perm:[0,0,0,0] row_mask:0xf bank_mask:0xf// 0000000222E4: 0B5150FA FF0000FA
	v_mul_f32_dpp v169, v250, v169 quad_perm:[1,1,1,1] row_mask:0xf bank_mask:0xf// 0000000222EC: 0B5352FA FF0055FA
	v_mul_f32_dpp v170, v250, v170 quad_perm:[2,2,2,2] row_mask:0xf bank_mask:0xf// 0000000222F4: 0B5554FA FF00AAFA
	v_mul_f32_dpp v171, v250, v171 quad_perm:[3,3,3,3] row_mask:0xf bank_mask:0xf// 0000000222FC: 0B5756FA FF00FFFA
	v_mul_f32_dpp v172, v251, v172 quad_perm:[0,0,0,0] row_mask:0xf bank_mask:0xf// 000000022304: 0B5958FA FF0000FB
	v_mul_f32_dpp v173, v251, v173 quad_perm:[1,1,1,1] row_mask:0xf bank_mask:0xf// 00000002230C: 0B5B5AFA FF0055FB
	v_mul_f32_dpp v174, v251, v174 quad_perm:[2,2,2,2] row_mask:0xf bank_mask:0xf// 000000022314: 0B5D5CFA FF00AAFB
	v_mul_f32_dpp v175, v251, v175 quad_perm:[3,3,3,3] row_mask:0xf bank_mask:0xf// 00000002231C: 0B5F5EFA FF00FFFB
	s_cmp_le_i32 s90, s89                                      // 000000022324: BF05595A
	s_cbranch_scc1 label_80BC                                  // 000000022328: BF850071
	v_mov_b32_e32 v66, 0xff800000                              // 00000002232C: 7E8402FF FF800000
	s_mov_b32 s60, s90                                         // 000000022334: BEBC005A
	s_add_u32 s61, s89, 0xff                                   // 000000022338: 803DFF59 000000FF
	v_mov_b32_e32 v64, s61                                     // 000000022340: 7E80023D
	v_lshrrev_b32_e32 v240, 4, v0                              // 000000022344: 21E00084
	v_mul_i32_i24_e32 v240, 4, v240                            // 000000022348: 0DE1E084
	v_add_u32_e32 v240, s60, v240                              // 00000002234C: 69E1E03C
	s_mov_b32 s61, 3                                           // 000000022350: BEBD0083
	s_mul_i32 s60, 16, s7                                      // 000000022354: 923C0790
	v_sub_u32_e64 v240, v240, s61                              // 000000022358: D13500F0 00007BF0
	v_add_u32_e32 v240, s60, v240                              // 000000022360: 69E1E03C
	v_add_u32_e32 v241, 1, v240                                // 000000022364: 69E3E081
	v_add_u32_e32 v242, 2, v240                                // 000000022368: 69E5E082
	v_add_u32_e32 v243, 3, v240                                // 00000002236C: 69E7E083
	v_cmp_le_u32_e64 s[40:41], v240, v64                       // 000000022370: D0CB0028 000281F0
	v_add_u32_e32 v240, 64, v240                               // 000000022378: 69E1E0C0
	s_nop 0                                                    // 00000002237C: BF800000
	v_cndmask_b32_e64 v160, v66, v160, s[40:41]                // 000000022380: D10000A0 00A34142
	v_cmp_le_u32_e64 s[40:41], v241, v64                       // 000000022388: D0CB0028 000281F1
	v_add_u32_e32 v241, 64, v241                               // 000000022390: 69E3E2C0
	s_nop 0                                                    // 000000022394: BF800000
	v_cndmask_b32_e64 v161, v66, v161, s[40:41]                // 000000022398: D10000A1 00A34342
	v_cmp_le_u32_e64 s[40:41], v242, v64                       // 0000000223A0: D0CB0028 000281F2
	v_add_u32_e32 v242, 64, v242                               // 0000000223A8: 69E5E4C0
	s_nop 0                                                    // 0000000223AC: BF800000
	v_cndmask_b32_e64 v162, v66, v162, s[40:41]                // 0000000223B0: D10000A2 00A34542
	v_cmp_le_u32_e64 s[40:41], v243, v64                       // 0000000223B8: D0CB0028 000281F3
	v_add_u32_e32 v243, 64, v243                               // 0000000223C0: 69E7E6C0
	s_nop 0                                                    // 0000000223C4: BF800000
	v_cndmask_b32_e64 v163, v66, v163, s[40:41]                // 0000000223C8: D10000A3 00A34742
	v_cmp_le_u32_e64 s[40:41], v240, v64                       // 0000000223D0: D0CB0028 000281F0
	v_add_u32_e32 v240, 64, v240                               // 0000000223D8: 69E1E0C0
	s_nop 0                                                    // 0000000223DC: BF800000
	v_cndmask_b32_e64 v164, v66, v164, s[40:41]                // 0000000223E0: D10000A4 00A34942
	v_cmp_le_u32_e64 s[40:41], v241, v64                       // 0000000223E8: D0CB0028 000281F1
	v_add_u32_e32 v241, 64, v241                               // 0000000223F0: 69E3E2C0
	s_nop 0                                                    // 0000000223F4: BF800000
	v_cndmask_b32_e64 v165, v66, v165, s[40:41]                // 0000000223F8: D10000A5 00A34B42
	v_cmp_le_u32_e64 s[40:41], v242, v64                       // 000000022400: D0CB0028 000281F2
	v_add_u32_e32 v242, 64, v242                               // 000000022408: 69E5E4C0
	s_nop 0                                                    // 00000002240C: BF800000
	v_cndmask_b32_e64 v166, v66, v166, s[40:41]                // 000000022410: D10000A6 00A34D42
	v_cmp_le_u32_e64 s[40:41], v243, v64                       // 000000022418: D0CB0028 000281F3
	v_add_u32_e32 v243, 64, v243                               // 000000022420: 69E7E6C0
	s_nop 0                                                    // 000000022424: BF800000
	v_cndmask_b32_e64 v167, v66, v167, s[40:41]                // 000000022428: D10000A7 00A34F42
	v_cmp_le_u32_e64 s[40:41], v240, v64                       // 000000022430: D0CB0028 000281F0
	v_add_u32_e32 v240, 64, v240                               // 000000022438: 69E1E0C0
	s_nop 0                                                    // 00000002243C: BF800000
	v_cndmask_b32_e64 v168, v66, v168, s[40:41]                // 000000022440: D10000A8 00A35142
	v_cmp_le_u32_e64 s[40:41], v241, v64                       // 000000022448: D0CB0028 000281F1
	v_add_u32_e32 v241, 64, v241                               // 000000022450: 69E3E2C0
	s_nop 0                                                    // 000000022454: BF800000
	v_cndmask_b32_e64 v169, v66, v169, s[40:41]                // 000000022458: D10000A9 00A35342
	v_cmp_le_u32_e64 s[40:41], v242, v64                       // 000000022460: D0CB0028 000281F2
	v_add_u32_e32 v242, 64, v242                               // 000000022468: 69E5E4C0
	s_nop 0                                                    // 00000002246C: BF800000
	v_cndmask_b32_e64 v170, v66, v170, s[40:41]                // 000000022470: D10000AA 00A35542
	v_cmp_le_u32_e64 s[40:41], v243, v64                       // 000000022478: D0CB0028 000281F3
	v_add_u32_e32 v243, 64, v243                               // 000000022480: 69E7E6C0
	s_nop 0                                                    // 000000022484: BF800000
	v_cndmask_b32_e64 v171, v66, v171, s[40:41]                // 000000022488: D10000AB 00A35742
	v_cmp_le_u32_e64 s[40:41], v240, v64                       // 000000022490: D0CB0028 000281F0
	v_add_u32_e32 v240, 64, v240                               // 000000022498: 69E1E0C0
	s_nop 0                                                    // 00000002249C: BF800000
	v_cndmask_b32_e64 v172, v66, v172, s[40:41]                // 0000000224A0: D10000AC 00A35942
	v_cmp_le_u32_e64 s[40:41], v241, v64                       // 0000000224A8: D0CB0028 000281F1
	v_add_u32_e32 v241, 64, v241                               // 0000000224B0: 69E3E2C0
	s_nop 0                                                    // 0000000224B4: BF800000
	v_cndmask_b32_e64 v173, v66, v173, s[40:41]                // 0000000224B8: D10000AD 00A35B42
	v_cmp_le_u32_e64 s[40:41], v242, v64                       // 0000000224C0: D0CB0028 000281F2
	v_add_u32_e32 v242, 64, v242                               // 0000000224C8: 69E5E4C0
	s_nop 0                                                    // 0000000224CC: BF800000
	v_cndmask_b32_e64 v174, v66, v174, s[40:41]                // 0000000224D0: D10000AE 00A35D42
	v_cmp_le_u32_e64 s[40:41], v243, v64                       // 0000000224D8: D0CB0028 000281F3
	v_add_u32_e32 v243, 64, v243                               // 0000000224E0: 69E7E6C0
	s_nop 0                                                    // 0000000224E4: BF800000
	v_cndmask_b32_e64 v175, v66, v175, s[40:41]                // 0000000224E8: D10000AF 00A35F42

00000000000224f0 <label_80BC>:
	s_add_u32 s90, s91, s90                                    // 0000000224F0: 805A5A5B
	v_mov_b32_e32 v48, v160                                    // 0000000224F4: 7E6003A0
	v_max3_f32 v48, v160, v161, v48                            // 0000000224F8: D1D30030 04C343A0
	v_max3_f32 v48, v162, v163, v48                            // 000000022500: D1D30030 04C347A2
	v_max3_f32 v48, v164, v165, v48                            // 000000022508: D1D30030 04C34BA4
	v_max3_f32 v48, v166, v167, v48                            // 000000022510: D1D30030 04C34FA6
	v_max3_f32 v48, v168, v169, v48                            // 000000022518: D1D30030 04C353A8
	v_max3_f32 v48, v170, v171, v48                            // 000000022520: D1D30030 04C357AA
	v_max3_f32 v48, v172, v173, v48                            // 000000022528: D1D30030 04C35BAC
	v_max3_f32 v48, v174, v175, v48                            // 000000022530: D1D30030 04C35FAE
	ds_write_b32 v8, v48 offset:16896                          // 000000022538: D81A4200 00003008
	v_mul_f32_e32 v232, v52, v232                              // 000000022540: 0BD1D134
	v_mul_f32_e32 v233, v52, v233                              // 000000022544: 0BD3D334
	v_mul_f32_e32 v234, v52, v234                              // 000000022548: 0BD5D534
	v_mul_f32_e32 v235, v52, v235                              // 00000002254C: 0BD7D734
	v_mul_f32_e32 v236, v52, v236                              // 000000022550: 0BD9D934
	v_mul_f32_e32 v237, v52, v237                              // 000000022554: 0BDBDB34
	v_mul_f32_e32 v238, v52, v238                              // 000000022558: 0BDDDD34
	v_mul_f32_e32 v239, v52, v239                              // 00000002255C: 0BDFDF34
	s_waitcnt lgkmcnt(0)                                       // 000000022560: BF8CC07F
	s_barrier                                                  // 000000022564: BF8A0000
	ds_read_b32 v64, v7 offset:16896                           // 000000022568: D86C4200 40000007
	ds_read_b32 v65, v7 offset:16960                           // 000000022570: D86C4240 41000007
	ds_read_b32 v66, v7 offset:17024                           // 000000022578: D86C4280 42000007
	ds_read_b32 v67, v7 offset:17088                           // 000000022580: D86C42C0 43000007
	ds_read_b32 v68, v7 offset:17152                           // 000000022588: D86C4300 44000007
	ds_read_b32 v69, v7 offset:17216                           // 000000022590: D86C4340 45000007
	ds_read_b32 v70, v7 offset:17280                           // 000000022598: D86C4380 46000007
	ds_read_b32 v71, v7 offset:17344                           // 0000000225A0: D86C43C0 47000007
	ds_read_b32 v72, v7 offset:17408                           // 0000000225A8: D86C4400 48000007
	ds_read_b32 v73, v7 offset:17472                           // 0000000225B0: D86C4440 49000007
	ds_read_b32 v74, v7 offset:17536                           // 0000000225B8: D86C4480 4A000007
	ds_read_b32 v75, v7 offset:17600                           // 0000000225C0: D86C44C0 4B000007
	ds_read_b32 v76, v7 offset:17664                           // 0000000225C8: D86C4500 4C000007
	ds_read_b32 v77, v7 offset:17728                           // 0000000225D0: D86C4540 4D000007
	ds_read_b32 v78, v7 offset:17792                           // 0000000225D8: D86C4580 4E000007
	ds_read_b32 v79, v7 offset:17856                           // 0000000225E0: D86C45C0 4F000007
	v_mul_f32_e32 v200, v47, v200                              // 0000000225E8: 0B91912F
	v_mul_f32_e32 v201, v47, v201                              // 0000000225EC: 0B93932F
	v_mul_f32_e32 v202, v47, v202                              // 0000000225F0: 0B95952F
	v_mul_f32_e32 v203, v47, v203                              // 0000000225F4: 0B97972F
	v_mul_f32_e32 v204, v47, v204                              // 0000000225F8: 0B99992F
	v_mul_f32_e32 v205, v47, v205                              // 0000000225FC: 0B9B9B2F
	v_mul_f32_e32 v206, v47, v206                              // 000000022600: 0B9D9D2F
	v_mul_f32_e32 v207, v47, v207                              // 000000022604: 0B9F9F2F
	s_waitcnt lgkmcnt(0)                                       // 000000022608: BF8CC07F
	v_max3_f32 v48, v64, v65, v48                              // 00000002260C: D1D30030 04C28340
	v_max3_f32 v48, v66, v67, v48                              // 000000022614: D1D30030 04C28742
	v_max3_f32 v48, v68, v69, v48                              // 00000002261C: D1D30030 04C28B44
	v_max3_f32 v48, v70, v71, v48                              // 000000022624: D1D30030 04C28F46
	v_max3_f32 v48, v72, v73, v48                              // 00000002262C: D1D30030 04C29348
	v_max3_f32 v48, v74, v75, v48                              // 000000022634: D1D30030 04C2974A
	v_max3_f32 v48, v76, v77, v48                              // 00000002263C: D1D30030 04C29B4C
	v_max3_f32 v48, v78, v79, v48                              // 000000022644: D1D30030 04C29F4E
	v_mov_b32_e32 v64, 0xff800000                              // 00000002264C: 7E8002FF FF800000
	v_cmp_eq_u32_e64 s[40:41], v64, v14                        // 000000022654: D0CA0028 00021D40
	s_nop 1                                                    // 00000002265C: BF800001
	v_max_f32_e32 v15, v48, v14                                // 000000022660: 161E1D30
	v_mul_f32_e32 v53, s64, v15                                // 000000022664: 0A6A1E40
	v_fma_f32 v160, v160, s64, -v53                            // 000000022668: D1CB00A0 84D481A0
	v_fma_f32 v161, v161, s64, -v53                            // 000000022670: D1CB00A1 84D481A1
	v_fma_f32 v162, v162, s64, -v53                            // 000000022678: D1CB00A2 84D481A2
	v_fma_f32 v163, v163, s64, -v53                            // 000000022680: D1CB00A3 84D481A3
	v_fma_f32 v164, v164, s64, -v53                            // 000000022688: D1CB00A4 84D481A4
	v_fma_f32 v165, v165, s64, -v53                            // 000000022690: D1CB00A5 84D481A5
	v_fma_f32 v166, v166, s64, -v53                            // 000000022698: D1CB00A6 84D481A6
	v_fma_f32 v167, v167, s64, -v53                            // 0000000226A0: D1CB00A7 84D481A7
	v_fma_f32 v168, v168, s64, -v53                            // 0000000226A8: D1CB00A8 84D481A8
	v_fma_f32 v169, v169, s64, -v53                            // 0000000226B0: D1CB00A9 84D481A9
	v_fma_f32 v170, v170, s64, -v53                            // 0000000226B8: D1CB00AA 84D481AA
	v_fma_f32 v171, v171, s64, -v53                            // 0000000226C0: D1CB00AB 84D481AB
	v_fma_f32 v172, v172, s64, -v53                            // 0000000226C8: D1CB00AC 84D481AC
	v_fma_f32 v173, v173, s64, -v53                            // 0000000226D0: D1CB00AD 84D481AD
	v_fma_f32 v174, v174, s64, -v53                            // 0000000226D8: D1CB00AE 84D481AE
	v_fma_f32 v175, v175, s64, -v53                            // 0000000226E0: D1CB00AF 84D481AF
	v_exp_f32_e32 v160, v160                                   // 0000000226E8: 7F4041A0
	v_exp_f32_e32 v161, v161                                   // 0000000226EC: 7F4241A1
	v_exp_f32_e32 v162, v162                                   // 0000000226F0: 7F4441A2
	v_exp_f32_e32 v163, v163                                   // 0000000226F4: 7F4641A3
	v_exp_f32_e32 v164, v164                                   // 0000000226F8: 7F4841A4
	v_exp_f32_e32 v165, v165                                   // 0000000226FC: 7F4A41A5
	v_exp_f32_e32 v166, v166                                   // 000000022700: 7F4C41A6
	v_exp_f32_e32 v167, v167                                   // 000000022704: 7F4E41A7
	v_exp_f32_e32 v168, v168                                   // 000000022708: 7F5041A8
	v_exp_f32_e32 v169, v169                                   // 00000002270C: 7F5241A9
	v_exp_f32_e32 v170, v170                                   // 000000022710: 7F5441AA
	v_exp_f32_e32 v171, v171                                   // 000000022714: 7F5641AB
	v_exp_f32_e32 v172, v172                                   // 000000022718: 7F5841AC
	v_exp_f32_e32 v173, v173                                   // 00000002271C: 7F5A41AD
	v_exp_f32_e32 v174, v174                                   // 000000022720: 7F5C41AE
	v_exp_f32_e32 v175, v175                                   // 000000022724: 7F5E41AF
	v_mul_f32_dpp v240, v252, v160 quad_perm:[0,0,0,0] row_mask:0xf bank_mask:0xf// 000000022728: 0BE140FA FF0000FC
	v_mul_f32_dpp v241, v252, v161 quad_perm:[1,1,1,1] row_mask:0xf bank_mask:0xf// 000000022730: 0BE342FA FF0055FC
	v_mul_f32_dpp v242, v252, v162 quad_perm:[2,2,2,2] row_mask:0xf bank_mask:0xf// 000000022738: 0BE544FA FF00AAFC
	v_mul_f32_dpp v243, v252, v163 quad_perm:[3,3,3,3] row_mask:0xf bank_mask:0xf// 000000022740: 0BE746FA FF00FFFC
	v_mul_f32_dpp v244, v253, v164 quad_perm:[0,0,0,0] row_mask:0xf bank_mask:0xf// 000000022748: 0BE948FA FF0000FD
	v_mul_f32_dpp v245, v253, v165 quad_perm:[1,1,1,1] row_mask:0xf bank_mask:0xf// 000000022750: 0BEB4AFA FF0055FD
	v_mul_f32_dpp v246, v253, v166 quad_perm:[2,2,2,2] row_mask:0xf bank_mask:0xf// 000000022758: 0BED4CFA FF00AAFD
	v_mul_f32_dpp v247, v253, v167 quad_perm:[3,3,3,3] row_mask:0xf bank_mask:0xf// 000000022760: 0BEF4EFA FF00FFFD
	v_mul_f32_dpp v248, v254, v168 quad_perm:[0,0,0,0] row_mask:0xf bank_mask:0xf// 000000022768: 0BF150FA FF0000FE
	v_mul_f32_dpp v249, v254, v169 quad_perm:[1,1,1,1] row_mask:0xf bank_mask:0xf// 000000022770: 0BF352FA FF0055FE
	v_mul_f32_dpp v250, v254, v170 quad_perm:[2,2,2,2] row_mask:0xf bank_mask:0xf// 000000022778: 0BF554FA FF00AAFE
	v_mul_f32_dpp v251, v254, v171 quad_perm:[3,3,3,3] row_mask:0xf bank_mask:0xf// 000000022780: 0BF756FA FF00FFFE
	v_mul_f32_dpp v252, v255, v172 quad_perm:[0,0,0,0] row_mask:0xf bank_mask:0xf// 000000022788: 0BF958FA FF0000FF
	v_mul_f32_dpp v253, v255, v173 quad_perm:[1,1,1,1] row_mask:0xf bank_mask:0xf// 000000022790: 0BFB5AFA FF0055FF
	v_mul_f32_dpp v254, v255, v174 quad_perm:[2,2,2,2] row_mask:0xf bank_mask:0xf// 000000022798: 0BFD5CFA FF00AAFF
	v_mul_f32_dpp v255, v255, v175 quad_perm:[3,3,3,3] row_mask:0xf bank_mask:0xf// 0000000227A0: 0BFF5EFA FF00FFFF
	v_mov_b32_e32 v48, 0x358637bd                              // 0000000227A8: 7E6002FF 358637BD
	v_max3_f32 v48, |v240|, |v241|, v48                        // 0000000227B0: D1D30330 04C3E3F0
	v_max3_f32 v48, |v242|, |v243|, v48                        // 0000000227B8: D1D30330 04C3E7F2
	v_max3_f32 v48, |v244|, |v245|, v48                        // 0000000227C0: D1D30330 04C3EBF4
	v_max3_f32 v48, |v246|, |v247|, v48                        // 0000000227C8: D1D30330 04C3EFF6
	v_max3_f32 v48, |v248|, |v249|, v48                        // 0000000227D0: D1D30330 04C3F3F8
	v_max3_f32 v48, |v250|, |v251|, v48                        // 0000000227D8: D1D30330 04C3F7FA
	v_max3_f32 v48, |v252|, |v253|, v48                        // 0000000227E0: D1D30330 04C3FBFC
	v_max3_f32 v48, |v254|, |v255|, v48                        // 0000000227E8: D1D30330 04C3FFFE
	ds_write_b32 v8, v48 offset:20992                          // 0000000227F0: D81A5200 00003008
	v_sub_f32_e32 v52, v14, v15                                // 0000000227F8: 04681F0E
	v_cndmask_b32_e64 v52, v52, 0, s[40:41]                    // 0000000227FC: D1000034 00A10134
	v_mov_b32_e32 v14, v15                                     // 000000022804: 7E1C030F
	v_mul_f32_e32 v52, s64, v52                                // 000000022808: 0A686840
	v_exp_f32_e32 v52, v52                                     // 00000002280C: 7E684134
	s_waitcnt lgkmcnt(0)                                       // 000000022810: BF8CC07F
	s_barrier                                                  // 000000022814: BF8A0000
	ds_read_b32 v64, v7 offset:20992                           // 000000022818: D86C5200 40000007
	ds_read_b32 v65, v7 offset:21056                           // 000000022820: D86C5240 41000007
	ds_read_b32 v66, v7 offset:21120                           // 000000022828: D86C5280 42000007
	ds_read_b32 v67, v7 offset:21184                           // 000000022830: D86C52C0 43000007
	ds_read_b32 v68, v7 offset:21248                           // 000000022838: D86C5300 44000007
	ds_read_b32 v69, v7 offset:21312                           // 000000022840: D86C5340 45000007
	ds_read_b32 v70, v7 offset:21376                           // 000000022848: D86C5380 46000007
	ds_read_b32 v71, v7 offset:21440                           // 000000022850: D86C53C0 47000007
	ds_read_b32 v72, v7 offset:21504                           // 000000022858: D86C5400 48000007
	ds_read_b32 v73, v7 offset:21568                           // 000000022860: D86C5440 49000007
	ds_read_b32 v74, v7 offset:21632                           // 000000022868: D86C5480 4A000007
	ds_read_b32 v75, v7 offset:21696                           // 000000022870: D86C54C0 4B000007
	ds_read_b32 v76, v7 offset:21760                           // 000000022878: D86C5500 4C000007
	ds_read_b32 v77, v7 offset:21824                           // 000000022880: D86C5540 4D000007
	ds_read_b32 v78, v7 offset:21888                           // 000000022888: D86C5580 4E000007
	ds_read_b32 v79, v7 offset:21952                           // 000000022890: D86C55C0 4F000007
	v_mul_f32_e32 v41, v52, v41                                // 000000022898: 0A525334
	v_mov_b32_e32 v15, v160                                    // 00000002289C: 7E1E03A0
	v_add_f32_e32 v15, v161, v15                               // 0000000228A0: 021E1FA1
	v_add_f32_e32 v15, v162, v15                               // 0000000228A4: 021E1FA2
	v_add_f32_e32 v15, v163, v15                               // 0000000228A8: 021E1FA3
	v_add_f32_e32 v15, v164, v15                               // 0000000228AC: 021E1FA4
	v_add_f32_e32 v15, v165, v15                               // 0000000228B0: 021E1FA5
	v_add_f32_e32 v15, v166, v15                               // 0000000228B4: 021E1FA6
	v_add_f32_e32 v15, v167, v15                               // 0000000228B8: 021E1FA7
	v_add_f32_e32 v15, v168, v15                               // 0000000228BC: 021E1FA8
	v_add_f32_e32 v15, v169, v15                               // 0000000228C0: 021E1FA9
	v_add_f32_e32 v15, v170, v15                               // 0000000228C4: 021E1FAA
	v_add_f32_e32 v15, v171, v15                               // 0000000228C8: 021E1FAB
	v_add_f32_e32 v15, v172, v15                               // 0000000228CC: 021E1FAC
	v_add_f32_e32 v15, v173, v15                               // 0000000228D0: 021E1FAD
	v_add_f32_e32 v15, v174, v15                               // 0000000228D4: 021E1FAE
	v_add_f32_e32 v15, v175, v15                               // 0000000228D8: 021E1FAF
	v_add_f32_e32 v41, v15, v41                                // 0000000228DC: 0252530F
	s_waitcnt lgkmcnt(0)                                       // 0000000228E0: BF8CC07F
	v_max3_f32 v48, |v64|, |v65|, v48                          // 0000000228E4: D1D30330 04C28340
	v_max3_f32 v48, |v66|, |v67|, v48                          // 0000000228EC: D1D30330 04C28742
	v_max3_f32 v48, |v68|, |v69|, v48                          // 0000000228F4: D1D30330 04C28B44
	v_max3_f32 v48, |v70|, |v71|, v48                          // 0000000228FC: D1D30330 04C28F46
	v_max3_f32 v48, |v72|, |v73|, v48                          // 000000022904: D1D30330 04C29348
	v_max3_f32 v48, |v74|, |v75|, v48                          // 00000002290C: D1D30330 04C2974A
	v_max3_f32 v48, |v76|, |v77|, v48                          // 000000022914: D1D30330 04C29B4C
	v_max3_f32 v48, |v78|, |v79|, v48                          // 00000002291C: D1D30330 04C29F4E
	s_nop 2                                                    // 000000022924: BF800002
	v_rcp_f32_e32 v48, v48                                     // 000000022928: 7E604530
	s_nop 1                                                    // 00000002292C: BF800001
	v_mul_f32_e32 v48, 0x43700000, v48                         // 000000022930: 0A6060FF 43700000
	v_mul_f32_e32 v160, v48, v240                              // 000000022938: 0B41E130
	v_mul_f32_e32 v161, v48, v241                              // 00000002293C: 0B43E330
	v_mul_f32_e32 v162, v48, v242                              // 000000022940: 0B45E530
	v_mul_f32_e32 v163, v48, v243                              // 000000022944: 0B47E730
	v_mul_f32_e32 v164, v48, v244                              // 000000022948: 0B49E930
	v_mul_f32_e32 v165, v48, v245                              // 00000002294C: 0B4BEB30
	v_mul_f32_e32 v166, v48, v246                              // 000000022950: 0B4DED30
	v_mul_f32_e32 v167, v48, v247                              // 000000022954: 0B4FEF30
	v_mul_f32_e32 v168, v48, v248                              // 000000022958: 0B51F130
	v_mul_f32_e32 v169, v48, v249                              // 00000002295C: 0B53F330
	v_mul_f32_e32 v170, v48, v250                              // 000000022960: 0B55F530
	v_mul_f32_e32 v171, v48, v251                              // 000000022964: 0B57F730
	v_mul_f32_e32 v172, v48, v252                              // 000000022968: 0B59F930
	v_mul_f32_e32 v173, v48, v253                              // 00000002296C: 0B5BFB30
	v_mul_f32_e32 v174, v48, v254                              // 000000022970: 0B5DFD30
	v_mul_f32_e32 v175, v48, v255                              // 000000022974: 0B5FFF30
	v_cvt_pk_fp8_f32 v160, v160, v161                          // 000000022978: D2A200A0 000343A0
	v_cvt_pk_fp8_f32 v160, v162, v163 op_sel:[0,0,1]           // 000000022980: D2A240A0 000347A2
	v_cvt_pk_fp8_f32 v161, v164, v165                          // 000000022988: D2A200A1 00034BA4
	v_cvt_pk_fp8_f32 v161, v166, v167 op_sel:[0,0,1]           // 000000022990: D2A240A1 00034FA6
	v_cvt_pk_fp8_f32 v162, v168, v169                          // 000000022998: D2A200A2 000353A8
	v_cvt_pk_fp8_f32 v162, v170, v171 op_sel:[0,0,1]           // 0000000229A0: D2A240A2 000357AA
	v_cvt_pk_fp8_f32 v163, v172, v173                          // 0000000229A8: D2A200A3 00035BAC
	v_cvt_pk_fp8_f32 v163, v174, v175 op_sel:[0,0,1]           // 0000000229B0: D2A240A3 00035FAE
	ds_write_b32 v10, v160 offset:37376                        // 0000000229B8: D81A9200 0000A00A
	ds_write_b32 v10, v161 offset:38400                        // 0000000229C0: D81A9600 0000A10A
	ds_write_b32 v10, v162 offset:39424                        // 0000000229C8: D81A9A00 0000A20A
	ds_write_b32 v10, v163 offset:40448                        // 0000000229D0: D81A9E00 0000A30A
	v_add_f32_e32 v232, v232, v200                             // 0000000229D8: 03D191E8
	v_add_f32_e32 v233, v233, v201                             // 0000000229DC: 03D393E9
	v_add_f32_e32 v234, v234, v202                             // 0000000229E0: 03D595EA
	v_add_f32_e32 v235, v235, v203                             // 0000000229E4: 03D797EB
	v_add_f32_e32 v236, v236, v204                             // 0000000229E8: 03D999EC
	v_add_f32_e32 v237, v237, v205                             // 0000000229EC: 03DB9BED
	v_add_f32_e32 v238, v238, v206                             // 0000000229F0: 03DD9DEE
	v_add_f32_e32 v239, v239, v207                             // 0000000229F4: 03DF9FEF
	v_rcp_f32_e32 v47, v48                                     // 0000000229F8: 7E5E4530
	s_waitcnt lgkmcnt(0)                                       // 0000000229FC: BF8CC07F
	s_barrier                                                  // 000000022A00: BF8A0000
	ds_read_b64 v[160:161], v9 offset:37376                    // 000000022A04: D8EC9200 A0000009
	ds_read_b64 v[162:163], v9 offset:37504                    // 000000022A0C: D8EC9280 A2000009
	ds_read_b64 v[164:165], v9 offset:38400                    // 000000022A14: D8EC9600 A4000009
	ds_read_b64 v[166:167], v9 offset:38528                    // 000000022A1C: D8EC9680 A6000009
	ds_read_b64 v[168:169], v9 offset:39424                    // 000000022A24: D8EC9A00 A8000009
	ds_read_b64 v[170:171], v9 offset:39552                    // 000000022A2C: D8EC9A80 AA000009
	ds_read_b64 v[172:173], v9 offset:40448                    // 000000022A34: D8EC9E00 AC000009
	ds_read_b64 v[174:175], v9 offset:40576                    // 000000022A3C: D8EC9E80 AE000009
	s_waitcnt vmcnt(15)                                        // 000000022A44: BF8C0F7F
	v_mfma_f32_16x16x32_fp8_fp8 v[176:179], a[96:97], v[112:113], 0// 000000022A48: D3F300B0 0A02E160
	v_mfma_f32_16x16x32_fp8_fp8 v[176:179], a[98:99], v[114:115], v[176:179]// 000000022A50: D3F300B0 0EC2E562
	buffer_load_dwordx4 a[80:83], v30, s[20:23], 0 offen offset:1024// 000000022A58: E05C1400 8085501E
	v_mfma_f32_16x16x32_fp8_fp8 v[176:179], a[100:101], v[116:117], v[176:179]// 000000022A60: D3F300B0 0EC2E964
	v_mfma_f32_16x16x32_fp8_fp8 v[176:179], a[102:103], v[118:119], v[176:179]// 000000022A68: D3F300B0 0EC2ED66
	v_mfma_f32_16x16x32_fp8_fp8 v[176:179], a[104:105], v[120:121], v[176:179]// 000000022A70: D3F300B0 0EC2F168
	v_mfma_f32_16x16x32_fp8_fp8 v[176:179], a[106:107], v[122:123], v[176:179]// 000000022A78: D3F300B0 0EC2F56A
	buffer_load_dwordx4 a[84:87], v31, s[20:23], 0 offen offset:1024// 000000022A80: E05C1400 8085541F
	v_mfma_f32_16x16x32_fp8_fp8 v[176:179], a[108:109], v[124:125], v[176:179]// 000000022A88: D3F300B0 0EC2F96C
	v_mfma_f32_16x16x32_fp8_fp8 v[176:179], a[110:111], v[126:127], v[176:179]// 000000022A90: D3F300B0 0EC2FD6E
	v_mfma_f32_16x16x32_fp8_fp8 v[180:183], a[112:113], v[112:113], 0// 000000022A98: D3F300B4 0A02E170
	v_mfma_f32_16x16x32_fp8_fp8 v[180:183], a[114:115], v[114:115], v[180:183]// 000000022AA0: D3F300B4 0ED2E572
	buffer_load_dwordx4 a[88:91], v32, s[20:23], 0 offen offset:1024// 000000022AA8: E05C1400 80855820
	v_mfma_f32_16x16x32_fp8_fp8 v[180:183], a[116:117], v[116:117], v[180:183]// 000000022AB0: D3F300B4 0ED2E974
	v_mfma_f32_16x16x32_fp8_fp8 v[180:183], a[118:119], v[118:119], v[180:183]// 000000022AB8: D3F300B4 0ED2ED76
	v_mfma_f32_16x16x32_fp8_fp8 v[180:183], a[120:121], v[120:121], v[180:183]// 000000022AC0: D3F300B4 0ED2F178
	v_mfma_f32_16x16x32_fp8_fp8 v[180:183], a[122:123], v[122:123], v[180:183]// 000000022AC8: D3F300B4 0ED2F57A
	buffer_load_dwordx4 a[92:95], v33, s[20:23], 0 offen offset:1024// 000000022AD0: E05C1400 80855C21
	v_mfma_f32_16x16x32_fp8_fp8 v[180:183], a[124:125], v[124:125], v[180:183]// 000000022AD8: D3F300B4 0ED2F97C
	s_lshr_b32 s57, s70, 4                                     // 000000022AE0: 8F398446
	s_add_u32 s57, 48, s57                                     // 000000022AE4: 803939B0
	v_mfma_f32_16x16x32_fp8_fp8 v[180:183], a[126:127], v[126:127], v[180:183]// 000000022AE8: D3F300B4 0ED2FD7E
	s_cmp_ge_u32 s57, s73                                      // 000000022AF0: BF094939
	s_cselect_b32 s56, 0, s56                                  // 000000022AF4: 85383880
	v_mfma_f32_16x16x32_fp8_fp8 v[184:187], a[96:97], v[128:129], 0// 000000022AF8: D3F300B8 0A030160
	v_mfma_f32_16x16x32_fp8_fp8 v[184:187], a[98:99], v[130:131], v[184:187]// 000000022B00: D3F300B8 0EE30562
	v_mfma_f32_16x16x32_fp8_fp8 v[184:187], a[100:101], v[132:133], v[184:187]// 000000022B08: D3F300B8 0EE30964
	v_mfma_f32_16x16x32_fp8_fp8 v[184:187], a[102:103], v[134:135], v[184:187]// 000000022B10: D3F300B8 0EE30D66
	v_mfma_f32_16x16x32_fp8_fp8 v[184:187], a[104:105], v[136:137], v[184:187]// 000000022B18: D3F300B8 0EE31168
	v_mfma_f32_16x16x32_fp8_fp8 v[184:187], a[106:107], v[138:139], v[184:187]// 000000022B20: D3F300B8 0EE3156A
	v_mfma_f32_16x16x32_fp8_fp8 v[184:187], a[108:109], v[140:141], v[184:187]// 000000022B28: D3F300B8 0EE3196C
	v_mfma_f32_16x16x32_fp8_fp8 v[184:187], a[110:111], v[142:143], v[184:187]// 000000022B30: D3F300B8 0EE31D6E
	v_mfma_f32_16x16x32_fp8_fp8 v[188:191], a[112:113], v[128:129], 0// 000000022B38: D3F300BC 0A030170
	v_mfma_f32_16x16x32_fp8_fp8 v[188:191], a[114:115], v[130:131], v[188:191]// 000000022B40: D3F300BC 0EF30572
	v_mfma_f32_16x16x32_fp8_fp8 v[188:191], a[116:117], v[132:133], v[188:191]// 000000022B48: D3F300BC 0EF30974
	v_mfma_f32_16x16x32_fp8_fp8 v[188:191], a[118:119], v[134:135], v[188:191]// 000000022B50: D3F300BC 0EF30D76
	v_mfma_f32_16x16x32_fp8_fp8 v[188:191], a[120:121], v[136:137], v[188:191]// 000000022B58: D3F300BC 0EF31178
	v_mfma_f32_16x16x32_fp8_fp8 v[188:191], a[122:123], v[138:139], v[188:191]// 000000022B60: D3F300BC 0EF3157A
	v_mfma_f32_16x16x32_fp8_fp8 v[188:191], a[124:125], v[140:141], v[188:191]// 000000022B68: D3F300BC 0EF3197C
	v_mfma_f32_16x16x32_fp8_fp8 v[188:191], a[126:127], v[142:143], v[188:191]// 000000022B70: D3F300BC 0EF31D7E
	v_mfma_f32_16x16x32_fp8_fp8 v[192:195], a[96:97], v[144:145], 0// 000000022B78: D3F300C0 0A032160
	v_mfma_f32_16x16x32_fp8_fp8 v[192:195], a[98:99], v[146:147], v[192:195]// 000000022B80: D3F300C0 0F032562
	v_mfma_f32_16x16x32_fp8_fp8 v[192:195], a[100:101], v[148:149], v[192:195]// 000000022B88: D3F300C0 0F032964
	v_mfma_f32_16x16x32_fp8_fp8 v[192:195], a[102:103], v[150:151], v[192:195]// 000000022B90: D3F300C0 0F032D66
	v_mfma_f32_16x16x32_fp8_fp8 v[192:195], a[104:105], v[152:153], v[192:195]// 000000022B98: D3F300C0 0F033168
	v_mfma_f32_16x16x32_fp8_fp8 v[192:195], a[106:107], v[154:155], v[192:195]// 000000022BA0: D3F300C0 0F03356A
	v_mfma_f32_16x16x32_fp8_fp8 v[192:195], a[108:109], v[156:157], v[192:195]// 000000022BA8: D3F300C0 0F03396C
	v_mfma_f32_16x16x32_fp8_fp8 v[192:195], a[110:111], v[158:159], v[192:195]// 000000022BB0: D3F300C0 0F033D6E
	v_mfma_f32_16x16x32_fp8_fp8 v[196:199], a[112:113], v[144:145], 0// 000000022BB8: D3F300C4 0A032170
	v_mfma_f32_16x16x32_fp8_fp8 v[196:199], a[114:115], v[146:147], v[196:199]// 000000022BC0: D3F300C4 0F132572
	v_mfma_f32_16x16x32_fp8_fp8 v[196:199], a[116:117], v[148:149], v[196:199]// 000000022BC8: D3F300C4 0F132974
	v_mfma_f32_16x16x32_fp8_fp8 v[196:199], a[118:119], v[150:151], v[196:199]// 000000022BD0: D3F300C4 0F132D76
	v_mfma_f32_16x16x32_fp8_fp8 v[196:199], a[120:121], v[152:153], v[196:199]// 000000022BD8: D3F300C4 0F133178
	v_mfma_f32_16x16x32_fp8_fp8 v[196:199], a[122:123], v[154:155], v[196:199]// 000000022BE0: D3F300C4 0F13357A
	v_mfma_f32_16x16x32_fp8_fp8 v[196:199], a[124:125], v[156:157], v[196:199]// 000000022BE8: D3F300C4 0F13397C
	v_mfma_f32_16x16x32_fp8_fp8 v[196:199], a[126:127], v[158:159], v[196:199]// 000000022BF0: D3F300C4 0F133D7E
	v_mfma_f32_16x16x32_fp8_fp8 v[200:203], a[96:97], v[160:161], 0// 000000022BF8: D3F300C8 0A034160
	v_mfma_f32_16x16x32_fp8_fp8 v[200:203], a[98:99], v[162:163], v[200:203]// 000000022C00: D3F300C8 0F234562
	v_mfma_f32_16x16x32_fp8_fp8 v[200:203], a[100:101], v[164:165], v[200:203]// 000000022C08: D3F300C8 0F234964
	v_mfma_f32_16x16x32_fp8_fp8 v[200:203], a[102:103], v[166:167], v[200:203]// 000000022C10: D3F300C8 0F234D66
	v_mfma_f32_16x16x32_fp8_fp8 v[200:203], a[104:105], v[168:169], v[200:203]// 000000022C18: D3F300C8 0F235168
	v_mfma_f32_16x16x32_fp8_fp8 v[200:203], a[106:107], v[170:171], v[200:203]// 000000022C20: D3F300C8 0F23556A
	v_mfma_f32_16x16x32_fp8_fp8 v[200:203], a[108:109], v[172:173], v[200:203]// 000000022C28: D3F300C8 0F23596C
	v_mfma_f32_16x16x32_fp8_fp8 v[200:203], a[110:111], v[174:175], v[200:203]// 000000022C30: D3F300C8 0F235D6E
	v_mfma_f32_16x16x32_fp8_fp8 v[204:207], a[112:113], v[160:161], 0// 000000022C38: D3F300CC 0A034170
	v_mfma_f32_16x16x32_fp8_fp8 v[204:207], a[114:115], v[162:163], v[204:207]// 000000022C40: D3F300CC 0F334572
	v_mfma_f32_16x16x32_fp8_fp8 v[204:207], a[116:117], v[164:165], v[204:207]// 000000022C48: D3F300CC 0F334974
	v_mfma_f32_16x16x32_fp8_fp8 v[204:207], a[118:119], v[166:167], v[204:207]// 000000022C50: D3F300CC 0F334D76
	v_mfma_f32_16x16x32_fp8_fp8 v[204:207], a[120:121], v[168:169], v[204:207]// 000000022C58: D3F300CC 0F335178
	v_mfma_f32_16x16x32_fp8_fp8 v[204:207], a[122:123], v[170:171], v[204:207]// 000000022C60: D3F300CC 0F33557A
	v_mfma_f32_16x16x32_fp8_fp8 v[204:207], a[124:125], v[172:173], v[204:207]// 000000022C68: D3F300CC 0F33597C
	v_mfma_f32_16x16x32_fp8_fp8 v[204:207], a[126:127], v[174:175], v[204:207]// 000000022C70: D3F300CC 0F335D7E
	v_add_u32_e32 v1, s56, v1                                  // 000000022C78: 68020238
	s_addk_i32 s70, 0x100                                      // 000000022C7C: B7460100
	s_cmp_lt_i32 s70, s71                                      // 000000022C80: BF044746
	s_cbranch_scc0 label_82A3                                  // 000000022C84: BF840001
	s_branch label_6EAC                                        // 000000022C88: BF82EC09

0000000000022c8c <label_82A3>:
	s_nop 0                                                    // 000000022C8C: BF800000
	s_nop 0                                                    // 000000022C90: BF800000
	s_branch label_969D                                        // 000000022C94: BF8213F7

0000000000022c98 <label_82A6>:
	s_waitcnt vmcnt(8) lgkmcnt(0)                              // 000000022C98: BF8C0078
	v_mul_u32_u24_dpp v64, v17, v54 row_newbcast:0 row_mask:0xf bank_mask:0xf// 000000022C9C: 10806CFA FF015011
	v_mul_u32_u24_dpp v65, v17, v54 row_newbcast:4 row_mask:0xf bank_mask:0xf// 000000022CA4: 10826CFA FF015411
	v_mul_u32_u24_dpp v66, v17, v54 row_newbcast:8 row_mask:0xf bank_mask:0xf// 000000022CAC: 10846CFA FF015811
	v_mul_u32_u24_dpp v67, v17, v54 row_newbcast:12 row_mask:0xf bank_mask:0xf// 000000022CB4: 10866CFA FF015C11
	v_add_u32_e32 v26, v64, v5                                 // 000000022CBC: 68340B40
	v_add_u32_e32 v27, v65, v5                                 // 000000022CC0: 68360B41
	v_add_u32_e32 v28, v66, v5                                 // 000000022CC4: 68380B42
	v_add_u32_e32 v29, v67, v5                                 // 000000022CC8: 683A0B43
	v_mul_u32_u24_dpp v64, v17, v63 quad_perm:[0,0,0,0] row_mask:0xf bank_mask:0xf// 000000022CCC: 10807EFA FF000011
	v_add_u32_e32 v3, v64, v59                                 // 000000022CD4: 68067740
	v_mul_u32_u24_dpp v64, v17, v63 quad_perm:[0,0,0,0] row_mask:0xf bank_mask:0xf// 000000022CD8: 10807EFA FF000011
	v_add_u32_e32 v56, v64, v60                                // 000000022CE0: 68707940
	v_mfma_f32_16x16x32_fp8_fp8 v[112:115], a[0:1], v[80:81], 0// 000000022CE4: D3F30070 0A02A100
	buffer_load_dwordx4 a[32:35], v26, s[16:19], 0 offen       // 000000022CEC: E05C1000 8084201A
	v_mfma_f32_16x16x32_fp8_fp8 v[112:115], a[2:3], v[82:83], v[112:115]// 000000022CF4: D3F30070 0DC2A502
	v_mfma_f32_16x16x32_fp8_fp8 v[112:115], a[4:5], v[84:85], v[112:115]// 000000022CFC: D3F30070 0DC2A904
	buffer_load_dword v16, v1, s[24:27], 0 offen               // 000000022D04: E0501000 80061001
	v_mfma_f32_16x16x32_fp8_fp8 v[112:115], a[6:7], v[86:87], v[112:115]// 000000022D0C: D3F30070 0DC2AD06
	v_mfma_f32_16x16x32_fp8_fp8 v[116:119], a[8:9], v[80:81], 0// 000000022D14: D3F30074 0A02A108
	buffer_load_dwordx4 a[36:39], v26, s[16:19], 0 offen offset:1024// 000000022D1C: E05C1400 8084241A
	v_mfma_f32_16x16x32_fp8_fp8 v[116:119], a[10:11], v[82:83], v[116:119]// 000000022D24: D3F30074 0DD2A50A
	v_mfma_f32_16x16x32_fp8_fp8 v[116:119], a[12:13], v[84:85], v[116:119]// 000000022D2C: D3F30074 0DD2A90C
	v_mfma_f32_16x16x32_fp8_fp8 v[116:119], a[14:15], v[86:87], v[116:119]// 000000022D34: D3F30074 0DD2AD0E
	v_mfma_f32_16x16x32_fp8_fp8 v[120:123], a[16:17], v[80:81], 0// 000000022D3C: D3F30078 0A02A110
	buffer_load_dwordx4 a[40:43], v27, s[16:19], 0 offen       // 000000022D44: E05C1000 8084281B
	v_mfma_f32_16x16x32_fp8_fp8 v[120:123], a[18:19], v[82:83], v[120:123]// 000000022D4C: D3F30078 0DE2A512
	v_mfma_f32_16x16x32_fp8_fp8 v[120:123], a[20:21], v[84:85], v[120:123]// 000000022D54: D3F30078 0DE2A914
	v_mfma_f32_16x16x32_fp8_fp8 v[120:123], a[22:23], v[86:87], v[120:123]// 000000022D5C: D3F30078 0DE2AD16
	v_mfma_f32_16x16x32_fp8_fp8 v[124:127], a[24:25], v[80:81], 0// 000000022D64: D3F3007C 0A02A118
	buffer_load_dwordx4 a[44:47], v27, s[16:19], 0 offen offset:1024// 000000022D6C: E05C1400 80842C1B
	v_mfma_f32_16x16x32_fp8_fp8 v[124:127], a[26:27], v[82:83], v[124:127]// 000000022D74: D3F3007C 0DF2A51A
	v_mfma_f32_16x16x32_fp8_fp8 v[124:127], a[28:29], v[84:85], v[124:127]// 000000022D7C: D3F3007C 0DF2A91C
	v_mfma_f32_16x16x32_fp8_fp8 v[124:127], a[30:31], v[86:87], v[124:127]// 000000022D84: D3F3007C 0DF2AD1E
	v_mfma_f32_16x16x32_fp8_fp8 v[128:131], a[0:1], v[88:89], 0// 000000022D8C: D3F30080 0A02B100
	v_mfma_f32_16x16x32_fp8_fp8 v[128:131], a[2:3], v[90:91], v[128:131]// 000000022D94: D3F30080 0E02B502
	v_mfma_f32_16x16x32_fp8_fp8 v[128:131], a[4:5], v[92:93], v[128:131]// 000000022D9C: D3F30080 0E02B904
	v_mfma_f32_16x16x32_fp8_fp8 v[128:131], a[6:7], v[94:95], v[128:131]// 000000022DA4: D3F30080 0E02BD06
	v_mfma_f32_16x16x32_fp8_fp8 v[132:135], a[8:9], v[88:89], 0// 000000022DAC: D3F30084 0A02B108
	v_mfma_f32_16x16x32_fp8_fp8 v[132:135], a[10:11], v[90:91], v[132:135]// 000000022DB4: D3F30084 0E12B50A
	v_mfma_f32_16x16x32_fp8_fp8 v[132:135], a[12:13], v[92:93], v[132:135]// 000000022DBC: D3F30084 0E12B90C
	v_mfma_f32_16x16x32_fp8_fp8 v[132:135], a[14:15], v[94:95], v[132:135]// 000000022DC4: D3F30084 0E12BD0E
	v_mfma_f32_16x16x32_fp8_fp8 v[136:139], a[16:17], v[88:89], 0// 000000022DCC: D3F30088 0A02B110
	v_mfma_f32_16x16x32_fp8_fp8 v[136:139], a[18:19], v[90:91], v[136:139]// 000000022DD4: D3F30088 0E22B512
	v_mfma_f32_16x16x32_fp8_fp8 v[136:139], a[20:21], v[92:93], v[136:139]// 000000022DDC: D3F30088 0E22B914
	v_mfma_f32_16x16x32_fp8_fp8 v[136:139], a[22:23], v[94:95], v[136:139]// 000000022DE4: D3F30088 0E22BD16
	v_mfma_f32_16x16x32_fp8_fp8 v[140:143], a[24:25], v[88:89], 0// 000000022DEC: D3F3008C 0A02B118
	v_mfma_f32_16x16x32_fp8_fp8 v[140:143], a[26:27], v[90:91], v[140:143]// 000000022DF4: D3F3008C 0E32B51A
	v_mfma_f32_16x16x32_fp8_fp8 v[140:143], a[28:29], v[92:93], v[140:143]// 000000022DFC: D3F3008C 0E32B91C
	v_mfma_f32_16x16x32_fp8_fp8 v[140:143], a[30:31], v[94:95], v[140:143]// 000000022E04: D3F3008C 0E32BD1E
	v_mfma_f32_16x16x32_fp8_fp8 v[144:147], a[0:1], v[96:97], 0// 000000022E0C: D3F30090 0A02C100
	v_mfma_f32_16x16x32_fp8_fp8 v[144:147], a[2:3], v[98:99], v[144:147]// 000000022E14: D3F30090 0E42C502
	v_mfma_f32_16x16x32_fp8_fp8 v[144:147], a[4:5], v[100:101], v[144:147]// 000000022E1C: D3F30090 0E42C904
	v_mfma_f32_16x16x32_fp8_fp8 v[144:147], a[6:7], v[102:103], v[144:147]// 000000022E24: D3F30090 0E42CD06
	v_mfma_f32_16x16x32_fp8_fp8 v[148:151], a[8:9], v[96:97], 0// 000000022E2C: D3F30094 0A02C108
	v_mfma_f32_16x16x32_fp8_fp8 v[148:151], a[10:11], v[98:99], v[148:151]// 000000022E34: D3F30094 0E52C50A
	v_mfma_f32_16x16x32_fp8_fp8 v[148:151], a[12:13], v[100:101], v[148:151]// 000000022E3C: D3F30094 0E52C90C
	v_mfma_f32_16x16x32_fp8_fp8 v[148:151], a[14:15], v[102:103], v[148:151]// 000000022E44: D3F30094 0E52CD0E
	v_mfma_f32_16x16x32_fp8_fp8 v[152:155], a[16:17], v[96:97], 0// 000000022E4C: D3F30098 0A02C110
	v_mfma_f32_16x16x32_fp8_fp8 v[152:155], a[18:19], v[98:99], v[152:155]// 000000022E54: D3F30098 0E62C512
	v_mfma_f32_16x16x32_fp8_fp8 v[152:155], a[20:21], v[100:101], v[152:155]// 000000022E5C: D3F30098 0E62C914
	v_mfma_f32_16x16x32_fp8_fp8 v[152:155], a[22:23], v[102:103], v[152:155]// 000000022E64: D3F30098 0E62CD16
	v_mfma_f32_16x16x32_fp8_fp8 v[156:159], a[24:25], v[96:97], 0// 000000022E6C: D3F3009C 0A02C118
	v_mfma_f32_16x16x32_fp8_fp8 v[156:159], a[26:27], v[98:99], v[156:159]// 000000022E74: D3F3009C 0E72C51A
	v_mfma_f32_16x16x32_fp8_fp8 v[156:159], a[28:29], v[100:101], v[156:159]// 000000022E7C: D3F3009C 0E72C91C
	v_mfma_f32_16x16x32_fp8_fp8 v[156:159], a[30:31], v[102:103], v[156:159]// 000000022E84: D3F3009C 0E72CD1E
	v_mfma_f32_16x16x32_fp8_fp8 v[160:163], a[0:1], v[104:105], 0// 000000022E8C: D3F300A0 0A02D100
	v_mfma_f32_16x16x32_fp8_fp8 v[160:163], a[2:3], v[106:107], v[160:163]// 000000022E94: D3F300A0 0E82D502
	v_mfma_f32_16x16x32_fp8_fp8 v[160:163], a[4:5], v[108:109], v[160:163]// 000000022E9C: D3F300A0 0E82D904
	v_mfma_f32_16x16x32_fp8_fp8 v[160:163], a[6:7], v[110:111], v[160:163]// 000000022EA4: D3F300A0 0E82DD06
	v_mfma_f32_16x16x32_fp8_fp8 v[164:167], a[8:9], v[104:105], 0// 000000022EAC: D3F300A4 0A02D108
	v_mfma_f32_16x16x32_fp8_fp8 v[164:167], a[10:11], v[106:107], v[164:167]// 000000022EB4: D3F300A4 0E92D50A
	v_mfma_f32_16x16x32_fp8_fp8 v[164:167], a[12:13], v[108:109], v[164:167]// 000000022EBC: D3F300A4 0E92D90C
	v_mfma_f32_16x16x32_fp8_fp8 v[164:167], a[14:15], v[110:111], v[164:167]// 000000022EC4: D3F300A4 0E92DD0E
	v_mfma_f32_16x16x32_fp8_fp8 v[168:171], a[16:17], v[104:105], 0// 000000022ECC: D3F300A8 0A02D110
	v_mfma_f32_16x16x32_fp8_fp8 v[168:171], a[18:19], v[106:107], v[168:171]// 000000022ED4: D3F300A8 0EA2D512
	v_mfma_f32_16x16x32_fp8_fp8 v[168:171], a[20:21], v[108:109], v[168:171]// 000000022EDC: D3F300A8 0EA2D914
	v_mfma_f32_16x16x32_fp8_fp8 v[168:171], a[22:23], v[110:111], v[168:171]// 000000022EE4: D3F300A8 0EA2DD16
	v_mfma_f32_16x16x32_fp8_fp8 v[172:175], a[24:25], v[104:105], 0// 000000022EEC: D3F300AC 0A02D118
	v_mfma_f32_16x16x32_fp8_fp8 v[172:175], a[26:27], v[106:107], v[172:175]// 000000022EF4: D3F300AC 0EB2D51A
	v_mfma_f32_16x16x32_fp8_fp8 v[172:175], a[28:29], v[108:109], v[172:175]// 000000022EFC: D3F300AC 0EB2D91C
	v_mfma_f32_16x16x32_fp8_fp8 v[172:175], a[30:31], v[110:111], v[172:175]// 000000022F04: D3F300AC 0EB2DD1E
	buffer_load_dword v43, v3, s[32:35], 0 offen               // 000000022F0C: E0501000 80082B03
	v_mov_b32_dpp v64, v42 row_shr:4 row_mask:0xf bank_mask:0xf// 000000022F14: 7E8002FA FF01142A
	v_mov_b32_dpp v65, v42 row_shl:4 row_mask:0xf bank_mask:0xf// 000000022F1C: 7E8202FA FF01042A
	v_cndmask_b32_e64 v248, v42, v64, s[44:45]                 // 000000022F24: D10000F8 00B2812A
	v_cndmask_b32_e64 v249, v65, v42, s[44:45]                 // 000000022F2C: D10000F9 00B25541
	v_mov_b32_dpp v64, v248 row_shr:8 row_mask:0xf bank_mask:0xf// 000000022F34: 7E8002FA FF0118F8
	v_mov_b32_dpp v65, v248 row_shl:8 row_mask:0xf bank_mask:0xf// 000000022F3C: 7E8202FA FF0108F8
	v_mov_b32_dpp v66, v249 row_shr:8 row_mask:0xf bank_mask:0xf// 000000022F44: 7E8402FA FF0118F9
	v_mov_b32_dpp v67, v249 row_shl:8 row_mask:0xf bank_mask:0xf// 000000022F4C: 7E8602FA FF0108F9
	v_mov_b32_e32 v68, v248                                    // 000000022F54: 7E8803F8
	v_mov_b32_e32 v69, v249                                    // 000000022F58: 7E8A03F9
	v_cndmask_b32_e64 v248, v68, v64, s[42:43]                 // 000000022F5C: D10000F8 00AA8144
	v_cndmask_b32_e64 v250, v68, v65, s[78:79]                 // 000000022F64: D10000FA 013A8344
	v_cndmask_b32_e64 v249, v69, v66, s[42:43]                 // 000000022F6C: D10000F9 00AA8545
	v_cndmask_b32_e64 v251, v69, v67, s[78:79]                 // 000000022F74: D10000FB 013A8745
	v_mov_b32_dpp v64, v57 row_shr:4 row_mask:0xf bank_mask:0xf// 000000022F7C: 7E8002FA FF011439
	v_mov_b32_dpp v65, v57 row_shl:4 row_mask:0xf bank_mask:0xf// 000000022F84: 7E8202FA FF010439
	v_cndmask_b32_e64 v252, v57, v64, s[44:45]                 // 000000022F8C: D10000FC 00B28139
	v_cndmask_b32_e64 v253, v65, v57, s[44:45]                 // 000000022F94: D10000FD 00B27341
	v_mov_b32_dpp v64, v252 row_shr:8 row_mask:0xf bank_mask:0xf// 000000022F9C: 7E8002FA FF0118FC
	v_mov_b32_dpp v65, v252 row_shl:8 row_mask:0xf bank_mask:0xf// 000000022FA4: 7E8202FA FF0108FC
	v_mov_b32_dpp v66, v253 row_shr:8 row_mask:0xf bank_mask:0xf// 000000022FAC: 7E8402FA FF0118FD
	v_mov_b32_dpp v67, v253 row_shl:8 row_mask:0xf bank_mask:0xf// 000000022FB4: 7E8602FA FF0108FD
	v_mov_b32_e32 v68, v252                                    // 000000022FBC: 7E8803FC
	v_mov_b32_e32 v69, v253                                    // 000000022FC0: 7E8A03FD
	v_cndmask_b32_e64 v252, v68, v64, s[42:43]                 // 000000022FC4: D10000FC 00AA8144
	v_cndmask_b32_e64 v254, v68, v65, s[78:79]                 // 000000022FCC: D10000FE 013A8344
	v_cndmask_b32_e64 v253, v69, v66, s[42:43]                 // 000000022FD4: D10000FD 00AA8545
	v_cndmask_b32_e64 v255, v69, v67, s[78:79]                 // 000000022FDC: D10000FF 013A8745
	buffer_load_dword v58, v56, s[36:39], 0 offen              // 000000022FE4: E0501000 80093A38
	v_mul_f32_e32 v112, v18, v112                              // 000000022FEC: 0AE0E112
	v_mul_f32_e32 v113, v18, v113                              // 000000022FF0: 0AE2E312
	v_mul_f32_e32 v114, v18, v114                              // 000000022FF4: 0AE4E512
	v_mul_f32_e32 v115, v18, v115                              // 000000022FF8: 0AE6E712
	v_mul_f32_e32 v116, v18, v116                              // 000000022FFC: 0AE8E912
	v_mul_f32_e32 v117, v18, v117                              // 000000023000: 0AEAEB12
	v_mul_f32_e32 v118, v18, v118                              // 000000023004: 0AECED12
	v_mul_f32_e32 v119, v18, v119                              // 000000023008: 0AEEEF12
	v_mul_f32_e32 v120, v18, v120                              // 00000002300C: 0AF0F112
	v_mul_f32_e32 v121, v18, v121                              // 000000023010: 0AF2F312
	v_mul_f32_e32 v122, v18, v122                              // 000000023014: 0AF4F512
	v_mul_f32_e32 v123, v18, v123                              // 000000023018: 0AF6F712
	v_mul_f32_e32 v124, v18, v124                              // 00000002301C: 0AF8F912
	v_mul_f32_e32 v125, v18, v125                              // 000000023020: 0AFAFB12
	v_mul_f32_e32 v126, v18, v126                              // 000000023024: 0AFCFD12
	v_mul_f32_e32 v127, v18, v127                              // 000000023028: 0AFEFF12
	buffer_load_dwordx4 a[48:51], v28, s[16:19], 0 offen       // 00000002302C: E05C1000 8084301C
	v_mul_f32_dpp v112, v248, v112 quad_perm:[0,0,0,0] row_mask:0xf bank_mask:0xf// 000000023034: 0AE0E0FA FF0000F8
	v_mul_f32_dpp v113, v248, v113 quad_perm:[1,1,1,1] row_mask:0xf bank_mask:0xf// 00000002303C: 0AE2E2FA FF0055F8
	v_mul_f32_dpp v114, v248, v114 quad_perm:[2,2,2,2] row_mask:0xf bank_mask:0xf// 000000023044: 0AE4E4FA FF00AAF8
	v_mul_f32_dpp v115, v248, v115 quad_perm:[3,3,3,3] row_mask:0xf bank_mask:0xf// 00000002304C: 0AE6E6FA FF00FFF8
	v_mul_f32_dpp v116, v249, v116 quad_perm:[0,0,0,0] row_mask:0xf bank_mask:0xf// 000000023054: 0AE8E8FA FF0000F9
	v_mul_f32_dpp v117, v249, v117 quad_perm:[1,1,1,1] row_mask:0xf bank_mask:0xf// 00000002305C: 0AEAEAFA FF0055F9
	v_mul_f32_dpp v118, v249, v118 quad_perm:[2,2,2,2] row_mask:0xf bank_mask:0xf// 000000023064: 0AECECFA FF00AAF9
	v_mul_f32_dpp v119, v249, v119 quad_perm:[3,3,3,3] row_mask:0xf bank_mask:0xf// 00000002306C: 0AEEEEFA FF00FFF9
	v_mul_f32_dpp v120, v250, v120 quad_perm:[0,0,0,0] row_mask:0xf bank_mask:0xf// 000000023074: 0AF0F0FA FF0000FA
	v_mul_f32_dpp v121, v250, v121 quad_perm:[1,1,1,1] row_mask:0xf bank_mask:0xf// 00000002307C: 0AF2F2FA FF0055FA
	v_mul_f32_dpp v122, v250, v122 quad_perm:[2,2,2,2] row_mask:0xf bank_mask:0xf// 000000023084: 0AF4F4FA FF00AAFA
	v_mul_f32_dpp v123, v250, v123 quad_perm:[3,3,3,3] row_mask:0xf bank_mask:0xf// 00000002308C: 0AF6F6FA FF00FFFA
	v_mul_f32_dpp v124, v251, v124 quad_perm:[0,0,0,0] row_mask:0xf bank_mask:0xf// 000000023094: 0AF8F8FA FF0000FB
	v_mul_f32_dpp v125, v251, v125 quad_perm:[1,1,1,1] row_mask:0xf bank_mask:0xf// 00000002309C: 0AFAFAFA FF0055FB
	v_mul_f32_dpp v126, v251, v126 quad_perm:[2,2,2,2] row_mask:0xf bank_mask:0xf// 0000000230A4: 0AFCFCFA FF00AAFB
	v_mul_f32_dpp v127, v251, v127 quad_perm:[3,3,3,3] row_mask:0xf bank_mask:0xf// 0000000230AC: 0AFEFEFA FF00FFFB
	buffer_load_dwordx4 a[52:55], v28, s[16:19], 0 offen offset:1024// 0000000230B4: E05C1400 8084341C
	s_cmp_le_i32 s90, s89                                      // 0000000230BC: BF05595A
	s_cbranch_scc1 label_8422                                  // 0000000230C0: BF850071
	v_mov_b32_e32 v66, 0xff800000                              // 0000000230C4: 7E8402FF FF800000
	s_mov_b32 s60, s90                                         // 0000000230CC: BEBC005A
	s_add_u32 s61, s89, 0xff                                   // 0000000230D0: 803DFF59 000000FF
	v_mov_b32_e32 v64, s61                                     // 0000000230D8: 7E80023D
	v_lshrrev_b32_e32 v240, 4, v0                              // 0000000230DC: 21E00084
	v_mul_i32_i24_e32 v240, 4, v240                            // 0000000230E0: 0DE1E084
	v_add_u32_e32 v240, s60, v240                              // 0000000230E4: 69E1E03C
	s_mov_b32 s61, 0                                           // 0000000230E8: BEBD0080
	s_mul_i32 s60, 16, s7                                      // 0000000230EC: 923C0790
	v_sub_u32_e64 v240, v240, s61                              // 0000000230F0: D13500F0 00007BF0
	v_add_u32_e32 v240, s60, v240                              // 0000000230F8: 69E1E03C
	v_add_u32_e32 v241, 1, v240                                // 0000000230FC: 69E3E081
	v_add_u32_e32 v242, 2, v240                                // 000000023100: 69E5E082
	v_add_u32_e32 v243, 3, v240                                // 000000023104: 69E7E083
	v_cmp_le_u32_e64 s[40:41], v240, v64                       // 000000023108: D0CB0028 000281F0
	v_add_u32_e32 v240, 64, v240                               // 000000023110: 69E1E0C0
	s_nop 0                                                    // 000000023114: BF800000
	v_cndmask_b32_e64 v112, v66, v112, s[40:41]                // 000000023118: D1000070 00A2E142
	v_cmp_le_u32_e64 s[40:41], v241, v64                       // 000000023120: D0CB0028 000281F1
	v_add_u32_e32 v241, 64, v241                               // 000000023128: 69E3E2C0
	s_nop 0                                                    // 00000002312C: BF800000
	v_cndmask_b32_e64 v113, v66, v113, s[40:41]                // 000000023130: D1000071 00A2E342
	v_cmp_le_u32_e64 s[40:41], v242, v64                       // 000000023138: D0CB0028 000281F2
	v_add_u32_e32 v242, 64, v242                               // 000000023140: 69E5E4C0
	s_nop 0                                                    // 000000023144: BF800000
	v_cndmask_b32_e64 v114, v66, v114, s[40:41]                // 000000023148: D1000072 00A2E542
	v_cmp_le_u32_e64 s[40:41], v243, v64                       // 000000023150: D0CB0028 000281F3
	v_add_u32_e32 v243, 64, v243                               // 000000023158: 69E7E6C0
	s_nop 0                                                    // 00000002315C: BF800000
	v_cndmask_b32_e64 v115, v66, v115, s[40:41]                // 000000023160: D1000073 00A2E742
	v_cmp_le_u32_e64 s[40:41], v240, v64                       // 000000023168: D0CB0028 000281F0
	v_add_u32_e32 v240, 64, v240                               // 000000023170: 69E1E0C0
	s_nop 0                                                    // 000000023174: BF800000
	v_cndmask_b32_e64 v116, v66, v116, s[40:41]                // 000000023178: D1000074 00A2E942
	v_cmp_le_u32_e64 s[40:41], v241, v64                       // 000000023180: D0CB0028 000281F1
	v_add_u32_e32 v241, 64, v241                               // 000000023188: 69E3E2C0
	s_nop 0                                                    // 00000002318C: BF800000
	v_cndmask_b32_e64 v117, v66, v117, s[40:41]                // 000000023190: D1000075 00A2EB42
	v_cmp_le_u32_e64 s[40:41], v242, v64                       // 000000023198: D0CB0028 000281F2
	v_add_u32_e32 v242, 64, v242                               // 0000000231A0: 69E5E4C0
	s_nop 0                                                    // 0000000231A4: BF800000
	v_cndmask_b32_e64 v118, v66, v118, s[40:41]                // 0000000231A8: D1000076 00A2ED42
	v_cmp_le_u32_e64 s[40:41], v243, v64                       // 0000000231B0: D0CB0028 000281F3
	v_add_u32_e32 v243, 64, v243                               // 0000000231B8: 69E7E6C0
	s_nop 0                                                    // 0000000231BC: BF800000
	v_cndmask_b32_e64 v119, v66, v119, s[40:41]                // 0000000231C0: D1000077 00A2EF42
	v_cmp_le_u32_e64 s[40:41], v240, v64                       // 0000000231C8: D0CB0028 000281F0
	v_add_u32_e32 v240, 64, v240                               // 0000000231D0: 69E1E0C0
	s_nop 0                                                    // 0000000231D4: BF800000
	v_cndmask_b32_e64 v120, v66, v120, s[40:41]                // 0000000231D8: D1000078 00A2F142
	v_cmp_le_u32_e64 s[40:41], v241, v64                       // 0000000231E0: D0CB0028 000281F1
	v_add_u32_e32 v241, 64, v241                               // 0000000231E8: 69E3E2C0
	s_nop 0                                                    // 0000000231EC: BF800000
	v_cndmask_b32_e64 v121, v66, v121, s[40:41]                // 0000000231F0: D1000079 00A2F342
	v_cmp_le_u32_e64 s[40:41], v242, v64                       // 0000000231F8: D0CB0028 000281F2
	v_add_u32_e32 v242, 64, v242                               // 000000023200: 69E5E4C0
	s_nop 0                                                    // 000000023204: BF800000
	v_cndmask_b32_e64 v122, v66, v122, s[40:41]                // 000000023208: D100007A 00A2F542
	v_cmp_le_u32_e64 s[40:41], v243, v64                       // 000000023210: D0CB0028 000281F3
	v_add_u32_e32 v243, 64, v243                               // 000000023218: 69E7E6C0
	s_nop 0                                                    // 00000002321C: BF800000
	v_cndmask_b32_e64 v123, v66, v123, s[40:41]                // 000000023220: D100007B 00A2F742
	v_cmp_le_u32_e64 s[40:41], v240, v64                       // 000000023228: D0CB0028 000281F0
	v_add_u32_e32 v240, 64, v240                               // 000000023230: 69E1E0C0
	s_nop 0                                                    // 000000023234: BF800000
	v_cndmask_b32_e64 v124, v66, v124, s[40:41]                // 000000023238: D100007C 00A2F942
	v_cmp_le_u32_e64 s[40:41], v241, v64                       // 000000023240: D0CB0028 000281F1
	v_add_u32_e32 v241, 64, v241                               // 000000023248: 69E3E2C0
	s_nop 0                                                    // 00000002324C: BF800000
	v_cndmask_b32_e64 v125, v66, v125, s[40:41]                // 000000023250: D100007D 00A2FB42
	v_cmp_le_u32_e64 s[40:41], v242, v64                       // 000000023258: D0CB0028 000281F2
	v_add_u32_e32 v242, 64, v242                               // 000000023260: 69E5E4C0
	s_nop 0                                                    // 000000023264: BF800000
	v_cndmask_b32_e64 v126, v66, v126, s[40:41]                // 000000023268: D100007E 00A2FD42
	v_cmp_le_u32_e64 s[40:41], v243, v64                       // 000000023270: D0CB0028 000281F3
	v_add_u32_e32 v243, 64, v243                               // 000000023278: 69E7E6C0
	s_nop 0                                                    // 00000002327C: BF800000
	v_cndmask_b32_e64 v127, v66, v127, s[40:41]                // 000000023280: D100007F 00A2FF42

0000000000023288 <label_8422>:
	v_mov_b32_e32 v48, v112                                    // 000000023288: 7E600370
	v_max3_f32 v48, v112, v113, v48                            // 00000002328C: D1D30030 04C2E370
	v_max3_f32 v48, v114, v115, v48                            // 000000023294: D1D30030 04C2E772
	v_max3_f32 v48, v116, v117, v48                            // 00000002329C: D1D30030 04C2EB74
	v_max3_f32 v48, v118, v119, v48                            // 0000000232A4: D1D30030 04C2EF76
	v_max3_f32 v48, v120, v121, v48                            // 0000000232AC: D1D30030 04C2F378
	v_max3_f32 v48, v122, v123, v48                            // 0000000232B4: D1D30030 04C2F77A
	v_max3_f32 v48, v124, v125, v48                            // 0000000232BC: D1D30030 04C2FB7C
	v_max3_f32 v48, v126, v127, v48                            // 0000000232C4: D1D30030 04C2FF7E
	ds_write_b32 v8, v48 offset:16896                          // 0000000232CC: D81A4200 00003008
	buffer_load_dwordx4 a[56:59], v29, s[16:19], 0 offen       // 0000000232D4: E05C1000 8084381D
	v_mul_u32_u24_dpp v64, v17, v54 row_newbcast:1 row_mask:0xf bank_mask:0xf// 0000000232DC: 10806CFA FF015111
	v_mul_u32_u24_dpp v65, v17, v54 row_newbcast:5 row_mask:0xf bank_mask:0xf// 0000000232E4: 10826CFA FF015511
	v_mul_u32_u24_dpp v66, v17, v54 row_newbcast:9 row_mask:0xf bank_mask:0xf// 0000000232EC: 10846CFA FF015911
	v_mul_u32_u24_dpp v67, v17, v54 row_newbcast:13 row_mask:0xf bank_mask:0xf// 0000000232F4: 10866CFA FF015D11
	v_add_u32_e32 v34, v64, v6                                 // 0000000232FC: 68440D40
	v_add_u32_e32 v35, v65, v6                                 // 000000023300: 68460D41
	v_add_u32_e32 v36, v66, v6                                 // 000000023304: 68480D42
	v_add_u32_e32 v37, v67, v6                                 // 000000023308: 684A0D43
	v_mul_f32_e32 v208, v49, v208                              // 00000002330C: 0BA1A131
	v_mul_f32_e32 v209, v49, v209                              // 000000023310: 0BA3A331
	v_mul_f32_e32 v210, v49, v210                              // 000000023314: 0BA5A531
	v_mul_f32_e32 v211, v49, v211                              // 000000023318: 0BA7A731
	v_mul_f32_e32 v212, v49, v212                              // 00000002331C: 0BA9A931
	v_mul_f32_e32 v213, v49, v213                              // 000000023320: 0BABAB31
	v_mul_f32_e32 v214, v49, v214                              // 000000023324: 0BADAD31
	v_mul_f32_e32 v215, v49, v215                              // 000000023328: 0BAFAF31
	s_waitcnt lgkmcnt(0)                                       // 00000002332C: BF8CC07F
	s_barrier                                                  // 000000023330: BF8A0000
	ds_read_b32 v64, v7 offset:16896                           // 000000023334: D86C4200 40000007
	ds_read_b32 v65, v7 offset:16960                           // 00000002333C: D86C4240 41000007
	ds_read_b32 v66, v7 offset:17024                           // 000000023344: D86C4280 42000007
	ds_read_b32 v67, v7 offset:17088                           // 00000002334C: D86C42C0 43000007
	ds_read_b32 v68, v7 offset:17152                           // 000000023354: D86C4300 44000007
	ds_read_b32 v69, v7 offset:17216                           // 00000002335C: D86C4340 45000007
	ds_read_b32 v70, v7 offset:17280                           // 000000023364: D86C4380 46000007
	ds_read_b32 v71, v7 offset:17344                           // 00000002336C: D86C43C0 47000007
	ds_read_b32 v72, v7 offset:17408                           // 000000023374: D86C4400 48000007
	ds_read_b32 v73, v7 offset:17472                           // 00000002337C: D86C4440 49000007
	ds_read_b32 v74, v7 offset:17536                           // 000000023384: D86C4480 4A000007
	ds_read_b32 v75, v7 offset:17600                           // 00000002338C: D86C44C0 4B000007
	ds_read_b32 v76, v7 offset:17664                           // 000000023394: D86C4500 4C000007
	ds_read_b32 v77, v7 offset:17728                           // 00000002339C: D86C4540 4D000007
	ds_read_b32 v78, v7 offset:17792                           // 0000000233A4: D86C4580 4E000007
	ds_read_b32 v79, v7 offset:17856                           // 0000000233AC: D86C45C0 4F000007
	buffer_load_dwordx4 a[60:63], v29, s[16:19], 0 offen offset:1024// 0000000233B4: E05C1400 80843C1D
	v_mul_f32_e32 v176, v44, v176                              // 0000000233BC: 0B61612C
	v_mul_f32_e32 v177, v44, v177                              // 0000000233C0: 0B63632C
	v_mul_f32_e32 v178, v44, v178                              // 0000000233C4: 0B65652C
	v_mul_f32_e32 v179, v44, v179                              // 0000000233C8: 0B67672C
	v_mul_f32_e32 v180, v44, v180                              // 0000000233CC: 0B69692C
	v_mul_f32_e32 v181, v44, v181                              // 0000000233D0: 0B6B6B2C
	v_mul_f32_e32 v182, v44, v182                              // 0000000233D4: 0B6D6D2C
	v_mul_f32_e32 v183, v44, v183                              // 0000000233D8: 0B6F6F2C
	s_waitcnt lgkmcnt(0)                                       // 0000000233DC: BF8CC07F
	v_max3_f32 v48, v64, v65, v48                              // 0000000233E0: D1D30030 04C28340
	v_max3_f32 v48, v66, v67, v48                              // 0000000233E8: D1D30030 04C28742
	v_max3_f32 v48, v68, v69, v48                              // 0000000233F0: D1D30030 04C28B44
	v_max3_f32 v48, v70, v71, v48                              // 0000000233F8: D1D30030 04C28F46
	v_max3_f32 v48, v72, v73, v48                              // 000000023400: D1D30030 04C29348
	v_max3_f32 v48, v74, v75, v48                              // 000000023408: D1D30030 04C2974A
	v_max3_f32 v48, v76, v77, v48                              // 000000023410: D1D30030 04C29B4C
	v_max3_f32 v48, v78, v79, v48                              // 000000023418: D1D30030 04C29F4E
	buffer_load_dwordx4 a[96:99], v34, s[20:23], 0 offen       // 000000023420: E05C1000 80856022
	v_mov_b32_e32 v64, 0xff800000                              // 000000023428: 7E8002FF FF800000
	v_cmp_eq_u32_e64 s[40:41], v64, v11                        // 000000023430: D0CA0028 00021740
	s_nop 1                                                    // 000000023438: BF800001
	v_max_f32_e32 v15, v48, v11                                // 00000002343C: 161E1730
	v_mul_f32_e32 v53, s64, v15                                // 000000023440: 0A6A1E40
	v_fma_f32 v112, v112, s64, -v53                            // 000000023444: D1CB0070 84D48170
	v_fma_f32 v113, v113, s64, -v53                            // 00000002344C: D1CB0071 84D48171
	v_fma_f32 v114, v114, s64, -v53                            // 000000023454: D1CB0072 84D48172
	v_fma_f32 v115, v115, s64, -v53                            // 00000002345C: D1CB0073 84D48173
	v_fma_f32 v116, v116, s64, -v53                            // 000000023464: D1CB0074 84D48174
	v_fma_f32 v117, v117, s64, -v53                            // 00000002346C: D1CB0075 84D48175
	v_fma_f32 v118, v118, s64, -v53                            // 000000023474: D1CB0076 84D48176
	v_fma_f32 v119, v119, s64, -v53                            // 00000002347C: D1CB0077 84D48177
	v_fma_f32 v120, v120, s64, -v53                            // 000000023484: D1CB0078 84D48178
	v_fma_f32 v121, v121, s64, -v53                            // 00000002348C: D1CB0079 84D48179
	v_fma_f32 v122, v122, s64, -v53                            // 000000023494: D1CB007A 84D4817A
	v_fma_f32 v123, v123, s64, -v53                            // 00000002349C: D1CB007B 84D4817B
	v_fma_f32 v124, v124, s64, -v53                            // 0000000234A4: D1CB007C 84D4817C
	v_fma_f32 v125, v125, s64, -v53                            // 0000000234AC: D1CB007D 84D4817D
	v_fma_f32 v126, v126, s64, -v53                            // 0000000234B4: D1CB007E 84D4817E
	v_fma_f32 v127, v127, s64, -v53                            // 0000000234BC: D1CB007F 84D4817F
	buffer_load_dwordx4 a[100:103], v35, s[20:23], 0 offen     // 0000000234C4: E05C1000 80856423
	v_exp_f32_e32 v112, v112                                   // 0000000234CC: 7EE04170
	v_exp_f32_e32 v113, v113                                   // 0000000234D0: 7EE24171
	v_exp_f32_e32 v114, v114                                   // 0000000234D4: 7EE44172
	v_exp_f32_e32 v115, v115                                   // 0000000234D8: 7EE64173
	v_exp_f32_e32 v116, v116                                   // 0000000234DC: 7EE84174
	v_exp_f32_e32 v117, v117                                   // 0000000234E0: 7EEA4175
	v_exp_f32_e32 v118, v118                                   // 0000000234E4: 7EEC4176
	v_exp_f32_e32 v119, v119                                   // 0000000234E8: 7EEE4177
	v_exp_f32_e32 v120, v120                                   // 0000000234EC: 7EF04178
	v_exp_f32_e32 v121, v121                                   // 0000000234F0: 7EF24179
	v_exp_f32_e32 v122, v122                                   // 0000000234F4: 7EF4417A
	v_exp_f32_e32 v123, v123                                   // 0000000234F8: 7EF6417B
	v_exp_f32_e32 v124, v124                                   // 0000000234FC: 7EF8417C
	v_exp_f32_e32 v125, v125                                   // 000000023500: 7EFA417D
	v_exp_f32_e32 v126, v126                                   // 000000023504: 7EFC417E
	v_exp_f32_e32 v127, v127                                   // 000000023508: 7EFE417F
	buffer_load_dwordx4 a[104:107], v36, s[20:23], 0 offen     // 00000002350C: E05C1000 80856824
	v_mul_f32_dpp v240, v252, v112 quad_perm:[0,0,0,0] row_mask:0xf bank_mask:0xf// 000000023514: 0BE0E0FA FF0000FC
	v_mul_f32_dpp v241, v252, v113 quad_perm:[1,1,1,1] row_mask:0xf bank_mask:0xf// 00000002351C: 0BE2E2FA FF0055FC
	v_mul_f32_dpp v242, v252, v114 quad_perm:[2,2,2,2] row_mask:0xf bank_mask:0xf// 000000023524: 0BE4E4FA FF00AAFC
	v_mul_f32_dpp v243, v252, v115 quad_perm:[3,3,3,3] row_mask:0xf bank_mask:0xf// 00000002352C: 0BE6E6FA FF00FFFC
	v_mul_f32_dpp v244, v253, v116 quad_perm:[0,0,0,0] row_mask:0xf bank_mask:0xf// 000000023534: 0BE8E8FA FF0000FD
	v_mul_f32_dpp v245, v253, v117 quad_perm:[1,1,1,1] row_mask:0xf bank_mask:0xf// 00000002353C: 0BEAEAFA FF0055FD
	v_mul_f32_dpp v246, v253, v118 quad_perm:[2,2,2,2] row_mask:0xf bank_mask:0xf// 000000023544: 0BECECFA FF00AAFD
	v_mul_f32_dpp v247, v253, v119 quad_perm:[3,3,3,3] row_mask:0xf bank_mask:0xf// 00000002354C: 0BEEEEFA FF00FFFD
	v_mul_f32_dpp v248, v254, v120 quad_perm:[0,0,0,0] row_mask:0xf bank_mask:0xf// 000000023554: 0BF0F0FA FF0000FE
	v_mul_f32_dpp v249, v254, v121 quad_perm:[1,1,1,1] row_mask:0xf bank_mask:0xf// 00000002355C: 0BF2F2FA FF0055FE
	v_mul_f32_dpp v250, v254, v122 quad_perm:[2,2,2,2] row_mask:0xf bank_mask:0xf// 000000023564: 0BF4F4FA FF00AAFE
	v_mul_f32_dpp v251, v254, v123 quad_perm:[3,3,3,3] row_mask:0xf bank_mask:0xf// 00000002356C: 0BF6F6FA FF00FFFE
	v_mul_f32_dpp v252, v255, v124 quad_perm:[0,0,0,0] row_mask:0xf bank_mask:0xf// 000000023574: 0BF8F8FA FF0000FF
	v_mul_f32_dpp v253, v255, v125 quad_perm:[1,1,1,1] row_mask:0xf bank_mask:0xf// 00000002357C: 0BFAFAFA FF0055FF
	v_mul_f32_dpp v254, v255, v126 quad_perm:[2,2,2,2] row_mask:0xf bank_mask:0xf// 000000023584: 0BFCFCFA FF00AAFF
	v_mul_f32_dpp v255, v255, v127 quad_perm:[3,3,3,3] row_mask:0xf bank_mask:0xf// 00000002358C: 0BFEFEFA FF00FFFF
	v_mov_b32_e32 v48, 0x358637bd                              // 000000023594: 7E6002FF 358637BD
	v_max3_f32 v48, |v240|, |v241|, v48                        // 00000002359C: D1D30330 04C3E3F0
	v_max3_f32 v48, |v242|, |v243|, v48                        // 0000000235A4: D1D30330 04C3E7F2
	v_max3_f32 v48, |v244|, |v245|, v48                        // 0000000235AC: D1D30330 04C3EBF4
	v_max3_f32 v48, |v246|, |v247|, v48                        // 0000000235B4: D1D30330 04C3EFF6
	v_max3_f32 v48, |v248|, |v249|, v48                        // 0000000235BC: D1D30330 04C3F3F8
	v_max3_f32 v48, |v250|, |v251|, v48                        // 0000000235C4: D1D30330 04C3F7FA
	v_max3_f32 v48, |v252|, |v253|, v48                        // 0000000235CC: D1D30330 04C3FBFC
	v_max3_f32 v48, |v254|, |v255|, v48                        // 0000000235D4: D1D30330 04C3FFFE
	buffer_load_dwordx4 a[108:111], v37, s[20:23], 0 offen     // 0000000235DC: E05C1000 80856C25
	ds_write_b32 v8, v48 offset:20992                          // 0000000235E4: D81A5200 00003008
	v_sub_f32_e32 v49, v11, v15                                // 0000000235EC: 04621F0B
	v_cndmask_b32_e64 v49, v49, 0, s[40:41]                    // 0000000235F0: D1000031 00A10131
	v_mov_b32_e32 v11, v15                                     // 0000000235F8: 7E16030F
	v_mul_f32_e32 v49, s64, v49                                // 0000000235FC: 0A626240
	v_exp_f32_e32 v49, v49                                     // 000000023600: 7E624131
	s_waitcnt lgkmcnt(0)                                       // 000000023604: BF8CC07F
	s_barrier                                                  // 000000023608: BF8A0000
	ds_read_b32 v64, v7 offset:20992                           // 00000002360C: D86C5200 40000007
	ds_read_b32 v65, v7 offset:21056                           // 000000023614: D86C5240 41000007
	ds_read_b32 v66, v7 offset:21120                           // 00000002361C: D86C5280 42000007
	ds_read_b32 v67, v7 offset:21184                           // 000000023624: D86C52C0 43000007
	ds_read_b32 v68, v7 offset:21248                           // 00000002362C: D86C5300 44000007
	ds_read_b32 v69, v7 offset:21312                           // 000000023634: D86C5340 45000007
	ds_read_b32 v70, v7 offset:21376                           // 00000002363C: D86C5380 46000007
	ds_read_b32 v71, v7 offset:21440                           // 000000023644: D86C53C0 47000007
	ds_read_b32 v72, v7 offset:21504                           // 00000002364C: D86C5400 48000007
	ds_read_b32 v73, v7 offset:21568                           // 000000023654: D86C5440 49000007
	ds_read_b32 v74, v7 offset:21632                           // 00000002365C: D86C5480 4A000007
	ds_read_b32 v75, v7 offset:21696                           // 000000023664: D86C54C0 4B000007
	ds_read_b32 v76, v7 offset:21760                           // 00000002366C: D86C5500 4C000007
	ds_read_b32 v77, v7 offset:21824                           // 000000023674: D86C5540 4D000007
	ds_read_b32 v78, v7 offset:21888                           // 00000002367C: D86C5580 4E000007
	ds_read_b32 v79, v7 offset:21952                           // 000000023684: D86C55C0 4F000007
	v_mul_f32_e32 v38, v49, v38                                // 00000002368C: 0A4C4D31
	v_mov_b32_e32 v15, v112                                    // 000000023690: 7E1E0370
	v_add_f32_e32 v15, v113, v15                               // 000000023694: 021E1F71
	v_add_f32_e32 v15, v114, v15                               // 000000023698: 021E1F72
	v_add_f32_e32 v15, v115, v15                               // 00000002369C: 021E1F73
	v_add_f32_e32 v15, v116, v15                               // 0000000236A0: 021E1F74
	v_add_f32_e32 v15, v117, v15                               // 0000000236A4: 021E1F75
	v_add_f32_e32 v15, v118, v15                               // 0000000236A8: 021E1F76
	v_add_f32_e32 v15, v119, v15                               // 0000000236AC: 021E1F77
	v_add_f32_e32 v15, v120, v15                               // 0000000236B0: 021E1F78
	v_add_f32_e32 v15, v121, v15                               // 0000000236B4: 021E1F79
	v_add_f32_e32 v15, v122, v15                               // 0000000236B8: 021E1F7A
	v_add_f32_e32 v15, v123, v15                               // 0000000236BC: 021E1F7B
	v_add_f32_e32 v15, v124, v15                               // 0000000236C0: 021E1F7C
	v_add_f32_e32 v15, v125, v15                               // 0000000236C4: 021E1F7D
	v_add_f32_e32 v15, v126, v15                               // 0000000236C8: 021E1F7E
	v_add_f32_e32 v15, v127, v15                               // 0000000236CC: 021E1F7F
	v_add_f32_e32 v38, v15, v38                                // 0000000236D0: 024C4D0F
	s_waitcnt lgkmcnt(0)                                       // 0000000236D4: BF8CC07F
	v_max3_f32 v48, |v64|, |v65|, v48                          // 0000000236D8: D1D30330 04C28340
	v_max3_f32 v48, |v66|, |v67|, v48                          // 0000000236E0: D1D30330 04C28742
	v_max3_f32 v48, |v68|, |v69|, v48                          // 0000000236E8: D1D30330 04C28B44
	v_max3_f32 v48, |v70|, |v71|, v48                          // 0000000236F0: D1D30330 04C28F46
	v_max3_f32 v48, |v72|, |v73|, v48                          // 0000000236F8: D1D30330 04C29348
	v_max3_f32 v48, |v74|, |v75|, v48                          // 000000023700: D1D30330 04C2974A
	v_max3_f32 v48, |v76|, |v77|, v48                          // 000000023708: D1D30330 04C29B4C
	v_max3_f32 v48, |v78|, |v79|, v48                          // 000000023710: D1D30330 04C29F4E
	s_nop 2                                                    // 000000023718: BF800002
	v_rcp_f32_e32 v48, v48                                     // 00000002371C: 7E604530
	s_nop 1                                                    // 000000023720: BF800001
	v_mul_f32_e32 v48, 0x43700000, v48                         // 000000023724: 0A6060FF 43700000
	v_mul_f32_e32 v112, v48, v240                              // 00000002372C: 0AE1E130
	v_mul_f32_e32 v113, v48, v241                              // 000000023730: 0AE3E330
	v_mul_f32_e32 v114, v48, v242                              // 000000023734: 0AE5E530
	v_mul_f32_e32 v115, v48, v243                              // 000000023738: 0AE7E730
	v_mul_f32_e32 v116, v48, v244                              // 00000002373C: 0AE9E930
	v_mul_f32_e32 v117, v48, v245                              // 000000023740: 0AEBEB30
	v_mul_f32_e32 v118, v48, v246                              // 000000023744: 0AEDED30
	v_mul_f32_e32 v119, v48, v247                              // 000000023748: 0AEFEF30
	v_mul_f32_e32 v120, v48, v248                              // 00000002374C: 0AF1F130
	v_mul_f32_e32 v121, v48, v249                              // 000000023750: 0AF3F330
	v_mul_f32_e32 v122, v48, v250                              // 000000023754: 0AF5F530
	v_mul_f32_e32 v123, v48, v251                              // 000000023758: 0AF7F730
	v_mul_f32_e32 v124, v48, v252                              // 00000002375C: 0AF9F930
	v_mul_f32_e32 v125, v48, v253                              // 000000023760: 0AFBFB30
	v_mul_f32_e32 v126, v48, v254                              // 000000023764: 0AFDFD30
	v_mul_f32_e32 v127, v48, v255                              // 000000023768: 0AFFFF30
	v_cvt_pk_fp8_f32 v112, v112, v113                          // 00000002376C: D2A20070 0002E370
	v_cvt_pk_fp8_f32 v112, v114, v115 op_sel:[0,0,1]           // 000000023774: D2A24070 0002E772
	v_cvt_pk_fp8_f32 v113, v116, v117                          // 00000002377C: D2A20071 0002EB74
	v_cvt_pk_fp8_f32 v113, v118, v119 op_sel:[0,0,1]           // 000000023784: D2A24071 0002EF76
	v_cvt_pk_fp8_f32 v114, v120, v121                          // 00000002378C: D2A20072 0002F378
	v_cvt_pk_fp8_f32 v114, v122, v123 op_sel:[0,0,1]           // 000000023794: D2A24072 0002F77A
	v_cvt_pk_fp8_f32 v115, v124, v125                          // 00000002379C: D2A20073 0002FB7C
	v_cvt_pk_fp8_f32 v115, v126, v127 op_sel:[0,0,1]           // 0000000237A4: D2A24073 0002FF7E
	ds_write_b32 v10, v112 offset:25088                        // 0000000237AC: D81A6200 0000700A
	ds_write_b32 v10, v113 offset:26112                        // 0000000237B4: D81A6600 0000710A
	ds_write_b32 v10, v114 offset:27136                        // 0000000237BC: D81A6A00 0000720A
	ds_write_b32 v10, v115 offset:28160                        // 0000000237C4: D81A6E00 0000730A
	v_add_f32_e32 v208, v208, v176                             // 0000000237CC: 03A161D0
	v_add_f32_e32 v209, v209, v177                             // 0000000237D0: 03A363D1
	v_add_f32_e32 v210, v210, v178                             // 0000000237D4: 03A565D2
	v_add_f32_e32 v211, v211, v179                             // 0000000237D8: 03A767D3
	v_add_f32_e32 v212, v212, v180                             // 0000000237DC: 03A969D4
	v_add_f32_e32 v213, v213, v181                             // 0000000237E0: 03AB6BD5
	v_add_f32_e32 v214, v214, v182                             // 0000000237E4: 03AD6DD6
	v_add_f32_e32 v215, v215, v183                             // 0000000237E8: 03AF6FD7
	v_rcp_f32_e32 v44, v48                                     // 0000000237EC: 7E584530
	s_waitcnt lgkmcnt(0)                                       // 0000000237F0: BF8CC07F
	s_barrier                                                  // 0000000237F4: BF8A0000
	ds_read_b64 v[112:113], v9 offset:25088                    // 0000000237F8: D8EC6200 70000009
	ds_read_b64 v[114:115], v9 offset:25216                    // 000000023800: D8EC6280 72000009
	ds_read_b64 v[116:117], v9 offset:26112                    // 000000023808: D8EC6600 74000009
	ds_read_b64 v[118:119], v9 offset:26240                    // 000000023810: D8EC6680 76000009
	ds_read_b64 v[120:121], v9 offset:27136                    // 000000023818: D8EC6A00 78000009
	ds_read_b64 v[122:123], v9 offset:27264                    // 000000023820: D8EC6A80 7A000009
	ds_read_b64 v[124:125], v9 offset:28160                    // 000000023828: D8EC6E00 7C000009
	ds_read_b64 v[126:127], v9 offset:28288                    // 000000023830: D8EC6E80 7E000009
	v_mov_b32_dpp v64, v42 row_shr:4 row_mask:0xf bank_mask:0xf// 000000023838: 7E8002FA FF01142A
	v_mov_b32_dpp v65, v42 row_shl:4 row_mask:0xf bank_mask:0xf// 000000023840: 7E8202FA FF01042A
	v_cndmask_b32_e64 v248, v42, v64, s[44:45]                 // 000000023848: D10000F8 00B2812A
	v_cndmask_b32_e64 v249, v65, v42, s[44:45]                 // 000000023850: D10000F9 00B25541
	v_mov_b32_dpp v64, v248 row_shr:8 row_mask:0xf bank_mask:0xf// 000000023858: 7E8002FA FF0118F8
	v_mov_b32_dpp v65, v248 row_shl:8 row_mask:0xf bank_mask:0xf// 000000023860: 7E8202FA FF0108F8
	v_mov_b32_dpp v66, v249 row_shr:8 row_mask:0xf bank_mask:0xf// 000000023868: 7E8402FA FF0118F9
	v_mov_b32_dpp v67, v249 row_shl:8 row_mask:0xf bank_mask:0xf// 000000023870: 7E8602FA FF0108F9
	v_mov_b32_e32 v68, v248                                    // 000000023878: 7E8803F8
	v_mov_b32_e32 v69, v249                                    // 00000002387C: 7E8A03F9
	v_cndmask_b32_e64 v248, v68, v64, s[42:43]                 // 000000023880: D10000F8 00AA8144
	v_cndmask_b32_e64 v250, v68, v65, s[78:79]                 // 000000023888: D10000FA 013A8344
	v_cndmask_b32_e64 v249, v69, v66, s[42:43]                 // 000000023890: D10000F9 00AA8545
	v_cndmask_b32_e64 v251, v69, v67, s[78:79]                 // 000000023898: D10000FB 013A8745
	v_mov_b32_dpp v64, v57 row_shr:4 row_mask:0xf bank_mask:0xf// 0000000238A0: 7E8002FA FF011439
	v_mov_b32_dpp v65, v57 row_shl:4 row_mask:0xf bank_mask:0xf// 0000000238A8: 7E8202FA FF010439
	v_cndmask_b32_e64 v252, v57, v64, s[44:45]                 // 0000000238B0: D10000FC 00B28139
	v_cndmask_b32_e64 v253, v65, v57, s[44:45]                 // 0000000238B8: D10000FD 00B27341
	v_mov_b32_dpp v64, v252 row_shr:8 row_mask:0xf bank_mask:0xf// 0000000238C0: 7E8002FA FF0118FC
	v_mov_b32_dpp v65, v252 row_shl:8 row_mask:0xf bank_mask:0xf// 0000000238C8: 7E8202FA FF0108FC
	v_mov_b32_dpp v66, v253 row_shr:8 row_mask:0xf bank_mask:0xf// 0000000238D0: 7E8402FA FF0118FD
	v_mov_b32_dpp v67, v253 row_shl:8 row_mask:0xf bank_mask:0xf// 0000000238D8: 7E8602FA FF0108FD
	v_mov_b32_e32 v68, v252                                    // 0000000238E0: 7E8803FC
	v_mov_b32_e32 v69, v253                                    // 0000000238E4: 7E8A03FD
	v_cndmask_b32_e64 v252, v68, v64, s[42:43]                 // 0000000238E8: D10000FC 00AA8144
	v_cndmask_b32_e64 v254, v68, v65, s[78:79]                 // 0000000238F0: D10000FE 013A8344
	v_cndmask_b32_e64 v253, v69, v66, s[42:43]                 // 0000000238F8: D10000FD 00AA8545
	v_cndmask_b32_e64 v255, v69, v67, s[78:79]                 // 000000023900: D10000FF 013A8745
	v_mul_f32_e32 v128, v19, v128                              // 000000023908: 0B010113
	v_mul_f32_e32 v129, v19, v129                              // 00000002390C: 0B030313
	v_mul_f32_e32 v130, v19, v130                              // 000000023910: 0B050513
	v_mul_f32_e32 v131, v19, v131                              // 000000023914: 0B070713
	v_mul_f32_e32 v132, v19, v132                              // 000000023918: 0B090913
	v_mul_f32_e32 v133, v19, v133                              // 00000002391C: 0B0B0B13
	v_mul_f32_e32 v134, v19, v134                              // 000000023920: 0B0D0D13
	v_mul_f32_e32 v135, v19, v135                              // 000000023924: 0B0F0F13
	v_mul_f32_e32 v136, v19, v136                              // 000000023928: 0B111113
	v_mul_f32_e32 v137, v19, v137                              // 00000002392C: 0B131313
	v_mul_f32_e32 v138, v19, v138                              // 000000023930: 0B151513
	v_mul_f32_e32 v139, v19, v139                              // 000000023934: 0B171713
	v_mul_f32_e32 v140, v19, v140                              // 000000023938: 0B191913
	v_mul_f32_e32 v141, v19, v141                              // 00000002393C: 0B1B1B13
	v_mul_f32_e32 v142, v19, v142                              // 000000023940: 0B1D1D13
	v_mul_f32_e32 v143, v19, v143                              // 000000023944: 0B1F1F13
	v_mul_f32_dpp v128, v248, v128 quad_perm:[0,0,0,0] row_mask:0xf bank_mask:0xf// 000000023948: 0B0100FA FF0000F8
	v_mul_f32_dpp v129, v248, v129 quad_perm:[1,1,1,1] row_mask:0xf bank_mask:0xf// 000000023950: 0B0302FA FF0055F8
	v_mul_f32_dpp v130, v248, v130 quad_perm:[2,2,2,2] row_mask:0xf bank_mask:0xf// 000000023958: 0B0504FA FF00AAF8
	v_mul_f32_dpp v131, v248, v131 quad_perm:[3,3,3,3] row_mask:0xf bank_mask:0xf// 000000023960: 0B0706FA FF00FFF8
	v_mul_f32_dpp v132, v249, v132 quad_perm:[0,0,0,0] row_mask:0xf bank_mask:0xf// 000000023968: 0B0908FA FF0000F9
	v_mul_f32_dpp v133, v249, v133 quad_perm:[1,1,1,1] row_mask:0xf bank_mask:0xf// 000000023970: 0B0B0AFA FF0055F9
	v_mul_f32_dpp v134, v249, v134 quad_perm:[2,2,2,2] row_mask:0xf bank_mask:0xf// 000000023978: 0B0D0CFA FF00AAF9
	v_mul_f32_dpp v135, v249, v135 quad_perm:[3,3,3,3] row_mask:0xf bank_mask:0xf// 000000023980: 0B0F0EFA FF00FFF9
	v_mul_f32_dpp v136, v250, v136 quad_perm:[0,0,0,0] row_mask:0xf bank_mask:0xf// 000000023988: 0B1110FA FF0000FA
	v_mul_f32_dpp v137, v250, v137 quad_perm:[1,1,1,1] row_mask:0xf bank_mask:0xf// 000000023990: 0B1312FA FF0055FA
	v_mul_f32_dpp v138, v250, v138 quad_perm:[2,2,2,2] row_mask:0xf bank_mask:0xf// 000000023998: 0B1514FA FF00AAFA
	v_mul_f32_dpp v139, v250, v139 quad_perm:[3,3,3,3] row_mask:0xf bank_mask:0xf// 0000000239A0: 0B1716FA FF00FFFA
	v_mul_f32_dpp v140, v251, v140 quad_perm:[0,0,0,0] row_mask:0xf bank_mask:0xf// 0000000239A8: 0B1918FA FF0000FB
	v_mul_f32_dpp v141, v251, v141 quad_perm:[1,1,1,1] row_mask:0xf bank_mask:0xf// 0000000239B0: 0B1B1AFA FF0055FB
	v_mul_f32_dpp v142, v251, v142 quad_perm:[2,2,2,2] row_mask:0xf bank_mask:0xf// 0000000239B8: 0B1D1CFA FF00AAFB
	v_mul_f32_dpp v143, v251, v143 quad_perm:[3,3,3,3] row_mask:0xf bank_mask:0xf// 0000000239C0: 0B1F1EFA FF00FFFB
	s_cmp_le_i32 s90, s89                                      // 0000000239C8: BF05595A
	s_cbranch_scc1 label_8665                                  // 0000000239CC: BF850071
	v_mov_b32_e32 v66, 0xff800000                              // 0000000239D0: 7E8402FF FF800000
	s_mov_b32 s60, s90                                         // 0000000239D8: BEBC005A
	s_add_u32 s61, s89, 0xff                                   // 0000000239DC: 803DFF59 000000FF
	v_mov_b32_e32 v64, s61                                     // 0000000239E4: 7E80023D
	v_lshrrev_b32_e32 v240, 4, v0                              // 0000000239E8: 21E00084
	v_mul_i32_i24_e32 v240, 4, v240                            // 0000000239EC: 0DE1E084
	v_add_u32_e32 v240, s60, v240                              // 0000000239F0: 69E1E03C
	s_mov_b32 s61, 1                                           // 0000000239F4: BEBD0081
	s_mul_i32 s60, 16, s7                                      // 0000000239F8: 923C0790
	v_sub_u32_e64 v240, v240, s61                              // 0000000239FC: D13500F0 00007BF0
	v_add_u32_e32 v240, s60, v240                              // 000000023A04: 69E1E03C
	v_add_u32_e32 v241, 1, v240                                // 000000023A08: 69E3E081
	v_add_u32_e32 v242, 2, v240                                // 000000023A0C: 69E5E082
	v_add_u32_e32 v243, 3, v240                                // 000000023A10: 69E7E083
	v_cmp_le_u32_e64 s[40:41], v240, v64                       // 000000023A14: D0CB0028 000281F0
	v_add_u32_e32 v240, 64, v240                               // 000000023A1C: 69E1E0C0
	s_nop 0                                                    // 000000023A20: BF800000
	v_cndmask_b32_e64 v128, v66, v128, s[40:41]                // 000000023A24: D1000080 00A30142
	v_cmp_le_u32_e64 s[40:41], v241, v64                       // 000000023A2C: D0CB0028 000281F1
	v_add_u32_e32 v241, 64, v241                               // 000000023A34: 69E3E2C0
	s_nop 0                                                    // 000000023A38: BF800000
	v_cndmask_b32_e64 v129, v66, v129, s[40:41]                // 000000023A3C: D1000081 00A30342
	v_cmp_le_u32_e64 s[40:41], v242, v64                       // 000000023A44: D0CB0028 000281F2
	v_add_u32_e32 v242, 64, v242                               // 000000023A4C: 69E5E4C0
	s_nop 0                                                    // 000000023A50: BF800000
	v_cndmask_b32_e64 v130, v66, v130, s[40:41]                // 000000023A54: D1000082 00A30542
	v_cmp_le_u32_e64 s[40:41], v243, v64                       // 000000023A5C: D0CB0028 000281F3
	v_add_u32_e32 v243, 64, v243                               // 000000023A64: 69E7E6C0
	s_nop 0                                                    // 000000023A68: BF800000
	v_cndmask_b32_e64 v131, v66, v131, s[40:41]                // 000000023A6C: D1000083 00A30742
	v_cmp_le_u32_e64 s[40:41], v240, v64                       // 000000023A74: D0CB0028 000281F0
	v_add_u32_e32 v240, 64, v240                               // 000000023A7C: 69E1E0C0
	s_nop 0                                                    // 000000023A80: BF800000
	v_cndmask_b32_e64 v132, v66, v132, s[40:41]                // 000000023A84: D1000084 00A30942
	v_cmp_le_u32_e64 s[40:41], v241, v64                       // 000000023A8C: D0CB0028 000281F1
	v_add_u32_e32 v241, 64, v241                               // 000000023A94: 69E3E2C0
	s_nop 0                                                    // 000000023A98: BF800000
	v_cndmask_b32_e64 v133, v66, v133, s[40:41]                // 000000023A9C: D1000085 00A30B42
	v_cmp_le_u32_e64 s[40:41], v242, v64                       // 000000023AA4: D0CB0028 000281F2
	v_add_u32_e32 v242, 64, v242                               // 000000023AAC: 69E5E4C0
	s_nop 0                                                    // 000000023AB0: BF800000
	v_cndmask_b32_e64 v134, v66, v134, s[40:41]                // 000000023AB4: D1000086 00A30D42
	v_cmp_le_u32_e64 s[40:41], v243, v64                       // 000000023ABC: D0CB0028 000281F3
	v_add_u32_e32 v243, 64, v243                               // 000000023AC4: 69E7E6C0
	s_nop 0                                                    // 000000023AC8: BF800000
	v_cndmask_b32_e64 v135, v66, v135, s[40:41]                // 000000023ACC: D1000087 00A30F42
	v_cmp_le_u32_e64 s[40:41], v240, v64                       // 000000023AD4: D0CB0028 000281F0
	v_add_u32_e32 v240, 64, v240                               // 000000023ADC: 69E1E0C0
	s_nop 0                                                    // 000000023AE0: BF800000
	v_cndmask_b32_e64 v136, v66, v136, s[40:41]                // 000000023AE4: D1000088 00A31142
	v_cmp_le_u32_e64 s[40:41], v241, v64                       // 000000023AEC: D0CB0028 000281F1
	v_add_u32_e32 v241, 64, v241                               // 000000023AF4: 69E3E2C0
	s_nop 0                                                    // 000000023AF8: BF800000
	v_cndmask_b32_e64 v137, v66, v137, s[40:41]                // 000000023AFC: D1000089 00A31342
	v_cmp_le_u32_e64 s[40:41], v242, v64                       // 000000023B04: D0CB0028 000281F2
	v_add_u32_e32 v242, 64, v242                               // 000000023B0C: 69E5E4C0
	s_nop 0                                                    // 000000023B10: BF800000
	v_cndmask_b32_e64 v138, v66, v138, s[40:41]                // 000000023B14: D100008A 00A31542
	v_cmp_le_u32_e64 s[40:41], v243, v64                       // 000000023B1C: D0CB0028 000281F3
	v_add_u32_e32 v243, 64, v243                               // 000000023B24: 69E7E6C0
	s_nop 0                                                    // 000000023B28: BF800000
	v_cndmask_b32_e64 v139, v66, v139, s[40:41]                // 000000023B2C: D100008B 00A31742
	v_cmp_le_u32_e64 s[40:41], v240, v64                       // 000000023B34: D0CB0028 000281F0
	v_add_u32_e32 v240, 64, v240                               // 000000023B3C: 69E1E0C0
	s_nop 0                                                    // 000000023B40: BF800000
	v_cndmask_b32_e64 v140, v66, v140, s[40:41]                // 000000023B44: D100008C 00A31942
	v_cmp_le_u32_e64 s[40:41], v241, v64                       // 000000023B4C: D0CB0028 000281F1
	v_add_u32_e32 v241, 64, v241                               // 000000023B54: 69E3E2C0
	s_nop 0                                                    // 000000023B58: BF800000
	v_cndmask_b32_e64 v141, v66, v141, s[40:41]                // 000000023B5C: D100008D 00A31B42
	v_cmp_le_u32_e64 s[40:41], v242, v64                       // 000000023B64: D0CB0028 000281F2
	v_add_u32_e32 v242, 64, v242                               // 000000023B6C: 69E5E4C0
	s_nop 0                                                    // 000000023B70: BF800000
	v_cndmask_b32_e64 v142, v66, v142, s[40:41]                // 000000023B74: D100008E 00A31D42
	v_cmp_le_u32_e64 s[40:41], v243, v64                       // 000000023B7C: D0CB0028 000281F3
	v_add_u32_e32 v243, 64, v243                               // 000000023B84: 69E7E6C0
	s_nop 0                                                    // 000000023B88: BF800000
	v_cndmask_b32_e64 v143, v66, v143, s[40:41]                // 000000023B8C: D100008F 00A31F42

0000000000023b94 <label_8665>:
	v_mov_b32_e32 v48, v128                                    // 000000023B94: 7E600380
	v_max3_f32 v48, v128, v129, v48                            // 000000023B98: D1D30030 04C30380
	v_max3_f32 v48, v130, v131, v48                            // 000000023BA0: D1D30030 04C30782
	v_max3_f32 v48, v132, v133, v48                            // 000000023BA8: D1D30030 04C30B84
	v_max3_f32 v48, v134, v135, v48                            // 000000023BB0: D1D30030 04C30F86
	v_max3_f32 v48, v136, v137, v48                            // 000000023BB8: D1D30030 04C31388
	v_max3_f32 v48, v138, v139, v48                            // 000000023BC0: D1D30030 04C3178A
	v_max3_f32 v48, v140, v141, v48                            // 000000023BC8: D1D30030 04C31B8C
	v_max3_f32 v48, v142, v143, v48                            // 000000023BD0: D1D30030 04C31F8E
	ds_write_b32 v8, v48 offset:16896                          // 000000023BD8: D81A4200 00003008
	v_mul_f32_e32 v216, v50, v216                              // 000000023BE0: 0BB1B132
	v_mul_f32_e32 v217, v50, v217                              // 000000023BE4: 0BB3B332
	v_mul_f32_e32 v218, v50, v218                              // 000000023BE8: 0BB5B532
	v_mul_f32_e32 v219, v50, v219                              // 000000023BEC: 0BB7B732
	v_mul_f32_e32 v220, v50, v220                              // 000000023BF0: 0BB9B932
	v_mul_f32_e32 v221, v50, v221                              // 000000023BF4: 0BBBBB32
	v_mul_f32_e32 v222, v50, v222                              // 000000023BF8: 0BBDBD32
	v_mul_f32_e32 v223, v50, v223                              // 000000023BFC: 0BBFBF32
	s_waitcnt lgkmcnt(0)                                       // 000000023C00: BF8CC07F
	s_barrier                                                  // 000000023C04: BF8A0000
	ds_read_b32 v64, v7 offset:16896                           // 000000023C08: D86C4200 40000007
	ds_read_b32 v65, v7 offset:16960                           // 000000023C10: D86C4240 41000007
	ds_read_b32 v66, v7 offset:17024                           // 000000023C18: D86C4280 42000007
	ds_read_b32 v67, v7 offset:17088                           // 000000023C20: D86C42C0 43000007
	ds_read_b32 v68, v7 offset:17152                           // 000000023C28: D86C4300 44000007
	ds_read_b32 v69, v7 offset:17216                           // 000000023C30: D86C4340 45000007
	ds_read_b32 v70, v7 offset:17280                           // 000000023C38: D86C4380 46000007
	ds_read_b32 v71, v7 offset:17344                           // 000000023C40: D86C43C0 47000007
	ds_read_b32 v72, v7 offset:17408                           // 000000023C48: D86C4400 48000007
	ds_read_b32 v73, v7 offset:17472                           // 000000023C50: D86C4440 49000007
	ds_read_b32 v74, v7 offset:17536                           // 000000023C58: D86C4480 4A000007
	ds_read_b32 v75, v7 offset:17600                           // 000000023C60: D86C44C0 4B000007
	ds_read_b32 v76, v7 offset:17664                           // 000000023C68: D86C4500 4C000007
	ds_read_b32 v77, v7 offset:17728                           // 000000023C70: D86C4540 4D000007
	ds_read_b32 v78, v7 offset:17792                           // 000000023C78: D86C4580 4E000007
	ds_read_b32 v79, v7 offset:17856                           // 000000023C80: D86C45C0 4F000007
	v_mul_f32_e32 v184, v45, v184                              // 000000023C88: 0B71712D
	v_mul_f32_e32 v185, v45, v185                              // 000000023C8C: 0B73732D
	v_mul_f32_e32 v186, v45, v186                              // 000000023C90: 0B75752D
	v_mul_f32_e32 v187, v45, v187                              // 000000023C94: 0B77772D
	v_mul_f32_e32 v188, v45, v188                              // 000000023C98: 0B79792D
	v_mul_f32_e32 v189, v45, v189                              // 000000023C9C: 0B7B7B2D
	v_mul_f32_e32 v190, v45, v190                              // 000000023CA0: 0B7D7D2D
	v_mul_f32_e32 v191, v45, v191                              // 000000023CA4: 0B7F7F2D
	s_waitcnt lgkmcnt(0)                                       // 000000023CA8: BF8CC07F
	v_max3_f32 v48, v64, v65, v48                              // 000000023CAC: D1D30030 04C28340
	v_max3_f32 v48, v66, v67, v48                              // 000000023CB4: D1D30030 04C28742
	v_max3_f32 v48, v68, v69, v48                              // 000000023CBC: D1D30030 04C28B44
	v_max3_f32 v48, v70, v71, v48                              // 000000023CC4: D1D30030 04C28F46
	v_max3_f32 v48, v72, v73, v48                              // 000000023CCC: D1D30030 04C29348
	v_max3_f32 v48, v74, v75, v48                              // 000000023CD4: D1D30030 04C2974A
	v_max3_f32 v48, v76, v77, v48                              // 000000023CDC: D1D30030 04C29B4C
	v_max3_f32 v48, v78, v79, v48                              // 000000023CE4: D1D30030 04C29F4E
	v_mov_b32_e32 v64, 0xff800000                              // 000000023CEC: 7E8002FF FF800000
	v_cmp_eq_u32_e64 s[40:41], v64, v12                        // 000000023CF4: D0CA0028 00021940
	s_nop 1                                                    // 000000023CFC: BF800001
	v_max_f32_e32 v15, v48, v12                                // 000000023D00: 161E1930
	v_mul_f32_e32 v53, s64, v15                                // 000000023D04: 0A6A1E40
	v_fma_f32 v128, v128, s64, -v53                            // 000000023D08: D1CB0080 84D48180
	v_fma_f32 v129, v129, s64, -v53                            // 000000023D10: D1CB0081 84D48181
	v_fma_f32 v130, v130, s64, -v53                            // 000000023D18: D1CB0082 84D48182
	v_fma_f32 v131, v131, s64, -v53                            // 000000023D20: D1CB0083 84D48183
	v_fma_f32 v132, v132, s64, -v53                            // 000000023D28: D1CB0084 84D48184
	v_fma_f32 v133, v133, s64, -v53                            // 000000023D30: D1CB0085 84D48185
	v_fma_f32 v134, v134, s64, -v53                            // 000000023D38: D1CB0086 84D48186
	v_fma_f32 v135, v135, s64, -v53                            // 000000023D40: D1CB0087 84D48187
	v_fma_f32 v136, v136, s64, -v53                            // 000000023D48: D1CB0088 84D48188
	v_fma_f32 v137, v137, s64, -v53                            // 000000023D50: D1CB0089 84D48189
	v_fma_f32 v138, v138, s64, -v53                            // 000000023D58: D1CB008A 84D4818A
	v_fma_f32 v139, v139, s64, -v53                            // 000000023D60: D1CB008B 84D4818B
	v_fma_f32 v140, v140, s64, -v53                            // 000000023D68: D1CB008C 84D4818C
	v_fma_f32 v141, v141, s64, -v53                            // 000000023D70: D1CB008D 84D4818D
	v_fma_f32 v142, v142, s64, -v53                            // 000000023D78: D1CB008E 84D4818E
	v_fma_f32 v143, v143, s64, -v53                            // 000000023D80: D1CB008F 84D4818F
	v_exp_f32_e32 v128, v128                                   // 000000023D88: 7F004180
	v_exp_f32_e32 v129, v129                                   // 000000023D8C: 7F024181
	v_exp_f32_e32 v130, v130                                   // 000000023D90: 7F044182
	v_exp_f32_e32 v131, v131                                   // 000000023D94: 7F064183
	v_exp_f32_e32 v132, v132                                   // 000000023D98: 7F084184
	v_exp_f32_e32 v133, v133                                   // 000000023D9C: 7F0A4185
	v_exp_f32_e32 v134, v134                                   // 000000023DA0: 7F0C4186
	v_exp_f32_e32 v135, v135                                   // 000000023DA4: 7F0E4187
	v_exp_f32_e32 v136, v136                                   // 000000023DA8: 7F104188
	v_exp_f32_e32 v137, v137                                   // 000000023DAC: 7F124189
	v_exp_f32_e32 v138, v138                                   // 000000023DB0: 7F14418A
	v_exp_f32_e32 v139, v139                                   // 000000023DB4: 7F16418B
	v_exp_f32_e32 v140, v140                                   // 000000023DB8: 7F18418C
	v_exp_f32_e32 v141, v141                                   // 000000023DBC: 7F1A418D
	v_exp_f32_e32 v142, v142                                   // 000000023DC0: 7F1C418E
	v_exp_f32_e32 v143, v143                                   // 000000023DC4: 7F1E418F
	v_mul_f32_dpp v240, v252, v128 quad_perm:[0,0,0,0] row_mask:0xf bank_mask:0xf// 000000023DC8: 0BE100FA FF0000FC
	v_mul_f32_dpp v241, v252, v129 quad_perm:[1,1,1,1] row_mask:0xf bank_mask:0xf// 000000023DD0: 0BE302FA FF0055FC
	v_mul_f32_dpp v242, v252, v130 quad_perm:[2,2,2,2] row_mask:0xf bank_mask:0xf// 000000023DD8: 0BE504FA FF00AAFC
	v_mul_f32_dpp v243, v252, v131 quad_perm:[3,3,3,3] row_mask:0xf bank_mask:0xf// 000000023DE0: 0BE706FA FF00FFFC
	v_mul_f32_dpp v244, v253, v132 quad_perm:[0,0,0,0] row_mask:0xf bank_mask:0xf// 000000023DE8: 0BE908FA FF0000FD
	v_mul_f32_dpp v245, v253, v133 quad_perm:[1,1,1,1] row_mask:0xf bank_mask:0xf// 000000023DF0: 0BEB0AFA FF0055FD
	v_mul_f32_dpp v246, v253, v134 quad_perm:[2,2,2,2] row_mask:0xf bank_mask:0xf// 000000023DF8: 0BED0CFA FF00AAFD
	v_mul_f32_dpp v247, v253, v135 quad_perm:[3,3,3,3] row_mask:0xf bank_mask:0xf// 000000023E00: 0BEF0EFA FF00FFFD
	v_mul_f32_dpp v248, v254, v136 quad_perm:[0,0,0,0] row_mask:0xf bank_mask:0xf// 000000023E08: 0BF110FA FF0000FE
	v_mul_f32_dpp v249, v254, v137 quad_perm:[1,1,1,1] row_mask:0xf bank_mask:0xf// 000000023E10: 0BF312FA FF0055FE
	v_mul_f32_dpp v250, v254, v138 quad_perm:[2,2,2,2] row_mask:0xf bank_mask:0xf// 000000023E18: 0BF514FA FF00AAFE
	v_mul_f32_dpp v251, v254, v139 quad_perm:[3,3,3,3] row_mask:0xf bank_mask:0xf// 000000023E20: 0BF716FA FF00FFFE
	v_mul_f32_dpp v252, v255, v140 quad_perm:[0,0,0,0] row_mask:0xf bank_mask:0xf// 000000023E28: 0BF918FA FF0000FF
	v_mul_f32_dpp v253, v255, v141 quad_perm:[1,1,1,1] row_mask:0xf bank_mask:0xf// 000000023E30: 0BFB1AFA FF0055FF
	v_mul_f32_dpp v254, v255, v142 quad_perm:[2,2,2,2] row_mask:0xf bank_mask:0xf// 000000023E38: 0BFD1CFA FF00AAFF
	v_mul_f32_dpp v255, v255, v143 quad_perm:[3,3,3,3] row_mask:0xf bank_mask:0xf// 000000023E40: 0BFF1EFA FF00FFFF
	v_mov_b32_e32 v48, 0x358637bd                              // 000000023E48: 7E6002FF 358637BD
	v_max3_f32 v48, |v240|, |v241|, v48                        // 000000023E50: D1D30330 04C3E3F0
	v_max3_f32 v48, |v242|, |v243|, v48                        // 000000023E58: D1D30330 04C3E7F2
	v_max3_f32 v48, |v244|, |v245|, v48                        // 000000023E60: D1D30330 04C3EBF4
	v_max3_f32 v48, |v246|, |v247|, v48                        // 000000023E68: D1D30330 04C3EFF6
	v_max3_f32 v48, |v248|, |v249|, v48                        // 000000023E70: D1D30330 04C3F3F8
	v_max3_f32 v48, |v250|, |v251|, v48                        // 000000023E78: D1D30330 04C3F7FA
	v_max3_f32 v48, |v252|, |v253|, v48                        // 000000023E80: D1D30330 04C3FBFC
	v_max3_f32 v48, |v254|, |v255|, v48                        // 000000023E88: D1D30330 04C3FFFE
	ds_write_b32 v8, v48 offset:20992                          // 000000023E90: D81A5200 00003008
	v_sub_f32_e32 v50, v12, v15                                // 000000023E98: 04641F0C
	v_cndmask_b32_e64 v50, v50, 0, s[40:41]                    // 000000023E9C: D1000032 00A10132
	v_mov_b32_e32 v12, v15                                     // 000000023EA4: 7E18030F
	v_mul_f32_e32 v50, s64, v50                                // 000000023EA8: 0A646440
	v_exp_f32_e32 v50, v50                                     // 000000023EAC: 7E644132
	s_waitcnt lgkmcnt(0)                                       // 000000023EB0: BF8CC07F
	s_barrier                                                  // 000000023EB4: BF8A0000
	ds_read_b32 v64, v7 offset:20992                           // 000000023EB8: D86C5200 40000007
	ds_read_b32 v65, v7 offset:21056                           // 000000023EC0: D86C5240 41000007
	ds_read_b32 v66, v7 offset:21120                           // 000000023EC8: D86C5280 42000007
	ds_read_b32 v67, v7 offset:21184                           // 000000023ED0: D86C52C0 43000007
	ds_read_b32 v68, v7 offset:21248                           // 000000023ED8: D86C5300 44000007
	ds_read_b32 v69, v7 offset:21312                           // 000000023EE0: D86C5340 45000007
	ds_read_b32 v70, v7 offset:21376                           // 000000023EE8: D86C5380 46000007
	ds_read_b32 v71, v7 offset:21440                           // 000000023EF0: D86C53C0 47000007
	ds_read_b32 v72, v7 offset:21504                           // 000000023EF8: D86C5400 48000007
	ds_read_b32 v73, v7 offset:21568                           // 000000023F00: D86C5440 49000007
	ds_read_b32 v74, v7 offset:21632                           // 000000023F08: D86C5480 4A000007
	ds_read_b32 v75, v7 offset:21696                           // 000000023F10: D86C54C0 4B000007
	ds_read_b32 v76, v7 offset:21760                           // 000000023F18: D86C5500 4C000007
	ds_read_b32 v77, v7 offset:21824                           // 000000023F20: D86C5540 4D000007
	ds_read_b32 v78, v7 offset:21888                           // 000000023F28: D86C5580 4E000007
	ds_read_b32 v79, v7 offset:21952                           // 000000023F30: D86C55C0 4F000007
	v_mul_f32_e32 v39, v50, v39                                // 000000023F38: 0A4E4F32
	v_mov_b32_e32 v15, v128                                    // 000000023F3C: 7E1E0380
	v_add_f32_e32 v15, v129, v15                               // 000000023F40: 021E1F81
	v_add_f32_e32 v15, v130, v15                               // 000000023F44: 021E1F82
	v_add_f32_e32 v15, v131, v15                               // 000000023F48: 021E1F83
	v_add_f32_e32 v15, v132, v15                               // 000000023F4C: 021E1F84
	v_add_f32_e32 v15, v133, v15                               // 000000023F50: 021E1F85
	v_add_f32_e32 v15, v134, v15                               // 000000023F54: 021E1F86
	v_add_f32_e32 v15, v135, v15                               // 000000023F58: 021E1F87
	v_add_f32_e32 v15, v136, v15                               // 000000023F5C: 021E1F88
	v_add_f32_e32 v15, v137, v15                               // 000000023F60: 021E1F89
	v_add_f32_e32 v15, v138, v15                               // 000000023F64: 021E1F8A
	v_add_f32_e32 v15, v139, v15                               // 000000023F68: 021E1F8B
	v_add_f32_e32 v15, v140, v15                               // 000000023F6C: 021E1F8C
	v_add_f32_e32 v15, v141, v15                               // 000000023F70: 021E1F8D
	v_add_f32_e32 v15, v142, v15                               // 000000023F74: 021E1F8E
	v_add_f32_e32 v15, v143, v15                               // 000000023F78: 021E1F8F
	v_add_f32_e32 v39, v15, v39                                // 000000023F7C: 024E4F0F
	s_waitcnt lgkmcnt(0)                                       // 000000023F80: BF8CC07F
	v_max3_f32 v48, |v64|, |v65|, v48                          // 000000023F84: D1D30330 04C28340
	v_max3_f32 v48, |v66|, |v67|, v48                          // 000000023F8C: D1D30330 04C28742
	v_max3_f32 v48, |v68|, |v69|, v48                          // 000000023F94: D1D30330 04C28B44
	v_max3_f32 v48, |v70|, |v71|, v48                          // 000000023F9C: D1D30330 04C28F46
	v_max3_f32 v48, |v72|, |v73|, v48                          // 000000023FA4: D1D30330 04C29348
	v_max3_f32 v48, |v74|, |v75|, v48                          // 000000023FAC: D1D30330 04C2974A
	v_max3_f32 v48, |v76|, |v77|, v48                          // 000000023FB4: D1D30330 04C29B4C
	v_max3_f32 v48, |v78|, |v79|, v48                          // 000000023FBC: D1D30330 04C29F4E
	s_nop 2                                                    // 000000023FC4: BF800002
	v_rcp_f32_e32 v48, v48                                     // 000000023FC8: 7E604530
	s_nop 1                                                    // 000000023FCC: BF800001
	v_mul_f32_e32 v48, 0x43700000, v48                         // 000000023FD0: 0A6060FF 43700000
	v_mul_f32_e32 v128, v48, v240                              // 000000023FD8: 0B01E130
	v_mul_f32_e32 v129, v48, v241                              // 000000023FDC: 0B03E330
	v_mul_f32_e32 v130, v48, v242                              // 000000023FE0: 0B05E530
	v_mul_f32_e32 v131, v48, v243                              // 000000023FE4: 0B07E730
	v_mul_f32_e32 v132, v48, v244                              // 000000023FE8: 0B09E930
	v_mul_f32_e32 v133, v48, v245                              // 000000023FEC: 0B0BEB30
	v_mul_f32_e32 v134, v48, v246                              // 000000023FF0: 0B0DED30
	v_mul_f32_e32 v135, v48, v247                              // 000000023FF4: 0B0FEF30
	v_mul_f32_e32 v136, v48, v248                              // 000000023FF8: 0B11F130
	v_mul_f32_e32 v137, v48, v249                              // 000000023FFC: 0B13F330
	v_mul_f32_e32 v138, v48, v250                              // 000000024000: 0B15F530
	v_mul_f32_e32 v139, v48, v251                              // 000000024004: 0B17F730
	v_mul_f32_e32 v140, v48, v252                              // 000000024008: 0B19F930
	v_mul_f32_e32 v141, v48, v253                              // 00000002400C: 0B1BFB30
	v_mul_f32_e32 v142, v48, v254                              // 000000024010: 0B1DFD30
	v_mul_f32_e32 v143, v48, v255                              // 000000024014: 0B1FFF30
	v_cvt_pk_fp8_f32 v128, v128, v129                          // 000000024018: D2A20080 00030380
	v_cvt_pk_fp8_f32 v128, v130, v131 op_sel:[0,0,1]           // 000000024020: D2A24080 00030782
	v_cvt_pk_fp8_f32 v129, v132, v133                          // 000000024028: D2A20081 00030B84
	v_cvt_pk_fp8_f32 v129, v134, v135 op_sel:[0,0,1]           // 000000024030: D2A24081 00030F86
	v_cvt_pk_fp8_f32 v130, v136, v137                          // 000000024038: D2A20082 00031388
	v_cvt_pk_fp8_f32 v130, v138, v139 op_sel:[0,0,1]           // 000000024040: D2A24082 0003178A
	v_cvt_pk_fp8_f32 v131, v140, v141                          // 000000024048: D2A20083 00031B8C
	v_cvt_pk_fp8_f32 v131, v142, v143 op_sel:[0,0,1]           // 000000024050: D2A24083 00031F8E
	ds_write_b32 v10, v128 offset:29184                        // 000000024058: D81A7200 0000800A
	ds_write_b32 v10, v129 offset:30208                        // 000000024060: D81A7600 0000810A
	ds_write_b32 v10, v130 offset:31232                        // 000000024068: D81A7A00 0000820A
	ds_write_b32 v10, v131 offset:32256                        // 000000024070: D81A7E00 0000830A
	v_add_f32_e32 v216, v216, v184                             // 000000024078: 03B171D8
	v_add_f32_e32 v217, v217, v185                             // 00000002407C: 03B373D9
	v_add_f32_e32 v218, v218, v186                             // 000000024080: 03B575DA
	v_add_f32_e32 v219, v219, v187                             // 000000024084: 03B777DB
	v_add_f32_e32 v220, v220, v188                             // 000000024088: 03B979DC
	v_add_f32_e32 v221, v221, v189                             // 00000002408C: 03BB7BDD
	v_add_f32_e32 v222, v222, v190                             // 000000024090: 03BD7DDE
	v_add_f32_e32 v223, v223, v191                             // 000000024094: 03BF7FDF
	v_rcp_f32_e32 v45, v48                                     // 000000024098: 7E5A4530
	s_waitcnt lgkmcnt(0)                                       // 00000002409C: BF8CC07F
	s_barrier                                                  // 0000000240A0: BF8A0000
	ds_read_b64 v[128:129], v9 offset:29184                    // 0000000240A4: D8EC7200 80000009
	ds_read_b64 v[130:131], v9 offset:29312                    // 0000000240AC: D8EC7280 82000009
	ds_read_b64 v[132:133], v9 offset:30208                    // 0000000240B4: D8EC7600 84000009
	ds_read_b64 v[134:135], v9 offset:30336                    // 0000000240BC: D8EC7680 86000009
	ds_read_b64 v[136:137], v9 offset:31232                    // 0000000240C4: D8EC7A00 88000009
	ds_read_b64 v[138:139], v9 offset:31360                    // 0000000240CC: D8EC7A80 8A000009
	ds_read_b64 v[140:141], v9 offset:32256                    // 0000000240D4: D8EC7E00 8C000009
	ds_read_b64 v[142:143], v9 offset:32384                    // 0000000240DC: D8EC7E80 8E000009
	v_mov_b32_dpp v64, v42 row_shr:4 row_mask:0xf bank_mask:0xf// 0000000240E4: 7E8002FA FF01142A
	v_mov_b32_dpp v65, v42 row_shl:4 row_mask:0xf bank_mask:0xf// 0000000240EC: 7E8202FA FF01042A
	v_cndmask_b32_e64 v248, v42, v64, s[44:45]                 // 0000000240F4: D10000F8 00B2812A
	v_cndmask_b32_e64 v249, v65, v42, s[44:45]                 // 0000000240FC: D10000F9 00B25541
	v_mov_b32_dpp v64, v248 row_shr:8 row_mask:0xf bank_mask:0xf// 000000024104: 7E8002FA FF0118F8
	v_mov_b32_dpp v65, v248 row_shl:8 row_mask:0xf bank_mask:0xf// 00000002410C: 7E8202FA FF0108F8
	v_mov_b32_dpp v66, v249 row_shr:8 row_mask:0xf bank_mask:0xf// 000000024114: 7E8402FA FF0118F9
	v_mov_b32_dpp v67, v249 row_shl:8 row_mask:0xf bank_mask:0xf// 00000002411C: 7E8602FA FF0108F9
	v_mov_b32_e32 v68, v248                                    // 000000024124: 7E8803F8
	v_mov_b32_e32 v69, v249                                    // 000000024128: 7E8A03F9
	v_cndmask_b32_e64 v248, v68, v64, s[42:43]                 // 00000002412C: D10000F8 00AA8144
	v_cndmask_b32_e64 v250, v68, v65, s[78:79]                 // 000000024134: D10000FA 013A8344
	v_cndmask_b32_e64 v249, v69, v66, s[42:43]                 // 00000002413C: D10000F9 00AA8545
	v_cndmask_b32_e64 v251, v69, v67, s[78:79]                 // 000000024144: D10000FB 013A8745
	v_mov_b32_dpp v64, v57 row_shr:4 row_mask:0xf bank_mask:0xf// 00000002414C: 7E8002FA FF011439
	v_mov_b32_dpp v65, v57 row_shl:4 row_mask:0xf bank_mask:0xf// 000000024154: 7E8202FA FF010439
	v_cndmask_b32_e64 v252, v57, v64, s[44:45]                 // 00000002415C: D10000FC 00B28139
	v_cndmask_b32_e64 v253, v65, v57, s[44:45]                 // 000000024164: D10000FD 00B27341
	v_mov_b32_dpp v64, v252 row_shr:8 row_mask:0xf bank_mask:0xf// 00000002416C: 7E8002FA FF0118FC
	v_mov_b32_dpp v65, v252 row_shl:8 row_mask:0xf bank_mask:0xf// 000000024174: 7E8202FA FF0108FC
	v_mov_b32_dpp v66, v253 row_shr:8 row_mask:0xf bank_mask:0xf// 00000002417C: 7E8402FA FF0118FD
	v_mov_b32_dpp v67, v253 row_shl:8 row_mask:0xf bank_mask:0xf// 000000024184: 7E8602FA FF0108FD
	v_mov_b32_e32 v68, v252                                    // 00000002418C: 7E8803FC
	v_mov_b32_e32 v69, v253                                    // 000000024190: 7E8A03FD
	v_cndmask_b32_e64 v252, v68, v64, s[42:43]                 // 000000024194: D10000FC 00AA8144
	v_cndmask_b32_e64 v254, v68, v65, s[78:79]                 // 00000002419C: D10000FE 013A8344
	v_cndmask_b32_e64 v253, v69, v66, s[42:43]                 // 0000000241A4: D10000FD 00AA8545
	v_cndmask_b32_e64 v255, v69, v67, s[78:79]                 // 0000000241AC: D10000FF 013A8745
	v_mul_f32_e32 v144, v20, v144                              // 0000000241B4: 0B212114
	v_mul_f32_e32 v145, v20, v145                              // 0000000241B8: 0B232314
	v_mul_f32_e32 v146, v20, v146                              // 0000000241BC: 0B252514
	v_mul_f32_e32 v147, v20, v147                              // 0000000241C0: 0B272714
	v_mul_f32_e32 v148, v20, v148                              // 0000000241C4: 0B292914
	v_mul_f32_e32 v149, v20, v149                              // 0000000241C8: 0B2B2B14
	v_mul_f32_e32 v150, v20, v150                              // 0000000241CC: 0B2D2D14
	v_mul_f32_e32 v151, v20, v151                              // 0000000241D0: 0B2F2F14
	v_mul_f32_e32 v152, v20, v152                              // 0000000241D4: 0B313114
	v_mul_f32_e32 v153, v20, v153                              // 0000000241D8: 0B333314
	v_mul_f32_e32 v154, v20, v154                              // 0000000241DC: 0B353514
	v_mul_f32_e32 v155, v20, v155                              // 0000000241E0: 0B373714
	v_mul_f32_e32 v156, v20, v156                              // 0000000241E4: 0B393914
	v_mul_f32_e32 v157, v20, v157                              // 0000000241E8: 0B3B3B14
	v_mul_f32_e32 v158, v20, v158                              // 0000000241EC: 0B3D3D14
	v_mul_f32_e32 v159, v20, v159                              // 0000000241F0: 0B3F3F14
	v_mul_f32_dpp v144, v248, v144 quad_perm:[0,0,0,0] row_mask:0xf bank_mask:0xf// 0000000241F4: 0B2120FA FF0000F8
	v_mul_f32_dpp v145, v248, v145 quad_perm:[1,1,1,1] row_mask:0xf bank_mask:0xf// 0000000241FC: 0B2322FA FF0055F8
	v_mul_f32_dpp v146, v248, v146 quad_perm:[2,2,2,2] row_mask:0xf bank_mask:0xf// 000000024204: 0B2524FA FF00AAF8
	v_mul_f32_dpp v147, v248, v147 quad_perm:[3,3,3,3] row_mask:0xf bank_mask:0xf// 00000002420C: 0B2726FA FF00FFF8
	v_mul_f32_dpp v148, v249, v148 quad_perm:[0,0,0,0] row_mask:0xf bank_mask:0xf// 000000024214: 0B2928FA FF0000F9
	v_mul_f32_dpp v149, v249, v149 quad_perm:[1,1,1,1] row_mask:0xf bank_mask:0xf// 00000002421C: 0B2B2AFA FF0055F9
	v_mul_f32_dpp v150, v249, v150 quad_perm:[2,2,2,2] row_mask:0xf bank_mask:0xf// 000000024224: 0B2D2CFA FF00AAF9
	v_mul_f32_dpp v151, v249, v151 quad_perm:[3,3,3,3] row_mask:0xf bank_mask:0xf// 00000002422C: 0B2F2EFA FF00FFF9
	v_mul_f32_dpp v152, v250, v152 quad_perm:[0,0,0,0] row_mask:0xf bank_mask:0xf// 000000024234: 0B3130FA FF0000FA
	v_mul_f32_dpp v153, v250, v153 quad_perm:[1,1,1,1] row_mask:0xf bank_mask:0xf// 00000002423C: 0B3332FA FF0055FA
	v_mul_f32_dpp v154, v250, v154 quad_perm:[2,2,2,2] row_mask:0xf bank_mask:0xf// 000000024244: 0B3534FA FF00AAFA
	v_mul_f32_dpp v155, v250, v155 quad_perm:[3,3,3,3] row_mask:0xf bank_mask:0xf// 00000002424C: 0B3736FA FF00FFFA
	v_mul_f32_dpp v156, v251, v156 quad_perm:[0,0,0,0] row_mask:0xf bank_mask:0xf// 000000024254: 0B3938FA FF0000FB
	v_mul_f32_dpp v157, v251, v157 quad_perm:[1,1,1,1] row_mask:0xf bank_mask:0xf// 00000002425C: 0B3B3AFA FF0055FB
	v_mul_f32_dpp v158, v251, v158 quad_perm:[2,2,2,2] row_mask:0xf bank_mask:0xf// 000000024264: 0B3D3CFA FF00AAFB
	v_mul_f32_dpp v159, v251, v159 quad_perm:[3,3,3,3] row_mask:0xf bank_mask:0xf// 00000002426C: 0B3F3EFA FF00FFFB
	s_cmp_le_i32 s90, s89                                      // 000000024274: BF05595A
	s_cbranch_scc1 label_8890                                  // 000000024278: BF850071
	v_mov_b32_e32 v66, 0xff800000                              // 00000002427C: 7E8402FF FF800000
	s_mov_b32 s60, s90                                         // 000000024284: BEBC005A
	s_add_u32 s61, s89, 0xff                                   // 000000024288: 803DFF59 000000FF
	v_mov_b32_e32 v64, s61                                     // 000000024290: 7E80023D
	v_lshrrev_b32_e32 v240, 4, v0                              // 000000024294: 21E00084
	v_mul_i32_i24_e32 v240, 4, v240                            // 000000024298: 0DE1E084
	v_add_u32_e32 v240, s60, v240                              // 00000002429C: 69E1E03C
	s_mov_b32 s61, 2                                           // 0000000242A0: BEBD0082
	s_mul_i32 s60, 16, s7                                      // 0000000242A4: 923C0790
	v_sub_u32_e64 v240, v240, s61                              // 0000000242A8: D13500F0 00007BF0
	v_add_u32_e32 v240, s60, v240                              // 0000000242B0: 69E1E03C
	v_add_u32_e32 v241, 1, v240                                // 0000000242B4: 69E3E081
	v_add_u32_e32 v242, 2, v240                                // 0000000242B8: 69E5E082
	v_add_u32_e32 v243, 3, v240                                // 0000000242BC: 69E7E083
	v_cmp_le_u32_e64 s[40:41], v240, v64                       // 0000000242C0: D0CB0028 000281F0
	v_add_u32_e32 v240, 64, v240                               // 0000000242C8: 69E1E0C0
	s_nop 0                                                    // 0000000242CC: BF800000
	v_cndmask_b32_e64 v144, v66, v144, s[40:41]                // 0000000242D0: D1000090 00A32142
	v_cmp_le_u32_e64 s[40:41], v241, v64                       // 0000000242D8: D0CB0028 000281F1
	v_add_u32_e32 v241, 64, v241                               // 0000000242E0: 69E3E2C0
	s_nop 0                                                    // 0000000242E4: BF800000
	v_cndmask_b32_e64 v145, v66, v145, s[40:41]                // 0000000242E8: D1000091 00A32342
	v_cmp_le_u32_e64 s[40:41], v242, v64                       // 0000000242F0: D0CB0028 000281F2
	v_add_u32_e32 v242, 64, v242                               // 0000000242F8: 69E5E4C0
	s_nop 0                                                    // 0000000242FC: BF800000
	v_cndmask_b32_e64 v146, v66, v146, s[40:41]                // 000000024300: D1000092 00A32542
	v_cmp_le_u32_e64 s[40:41], v243, v64                       // 000000024308: D0CB0028 000281F3
	v_add_u32_e32 v243, 64, v243                               // 000000024310: 69E7E6C0
	s_nop 0                                                    // 000000024314: BF800000
	v_cndmask_b32_e64 v147, v66, v147, s[40:41]                // 000000024318: D1000093 00A32742
	v_cmp_le_u32_e64 s[40:41], v240, v64                       // 000000024320: D0CB0028 000281F0
	v_add_u32_e32 v240, 64, v240                               // 000000024328: 69E1E0C0
	s_nop 0                                                    // 00000002432C: BF800000
	v_cndmask_b32_e64 v148, v66, v148, s[40:41]                // 000000024330: D1000094 00A32942
	v_cmp_le_u32_e64 s[40:41], v241, v64                       // 000000024338: D0CB0028 000281F1
	v_add_u32_e32 v241, 64, v241                               // 000000024340: 69E3E2C0
	s_nop 0                                                    // 000000024344: BF800000
	v_cndmask_b32_e64 v149, v66, v149, s[40:41]                // 000000024348: D1000095 00A32B42
	v_cmp_le_u32_e64 s[40:41], v242, v64                       // 000000024350: D0CB0028 000281F2
	v_add_u32_e32 v242, 64, v242                               // 000000024358: 69E5E4C0
	s_nop 0                                                    // 00000002435C: BF800000
	v_cndmask_b32_e64 v150, v66, v150, s[40:41]                // 000000024360: D1000096 00A32D42
	v_cmp_le_u32_e64 s[40:41], v243, v64                       // 000000024368: D0CB0028 000281F3
	v_add_u32_e32 v243, 64, v243                               // 000000024370: 69E7E6C0
	s_nop 0                                                    // 000000024374: BF800000
	v_cndmask_b32_e64 v151, v66, v151, s[40:41]                // 000000024378: D1000097 00A32F42
	v_cmp_le_u32_e64 s[40:41], v240, v64                       // 000000024380: D0CB0028 000281F0
	v_add_u32_e32 v240, 64, v240                               // 000000024388: 69E1E0C0
	s_nop 0                                                    // 00000002438C: BF800000
	v_cndmask_b32_e64 v152, v66, v152, s[40:41]                // 000000024390: D1000098 00A33142
	v_cmp_le_u32_e64 s[40:41], v241, v64                       // 000000024398: D0CB0028 000281F1
	v_add_u32_e32 v241, 64, v241                               // 0000000243A0: 69E3E2C0
	s_nop 0                                                    // 0000000243A4: BF800000
	v_cndmask_b32_e64 v153, v66, v153, s[40:41]                // 0000000243A8: D1000099 00A33342
	v_cmp_le_u32_e64 s[40:41], v242, v64                       // 0000000243B0: D0CB0028 000281F2
	v_add_u32_e32 v242, 64, v242                               // 0000000243B8: 69E5E4C0
	s_nop 0                                                    // 0000000243BC: BF800000
	v_cndmask_b32_e64 v154, v66, v154, s[40:41]                // 0000000243C0: D100009A 00A33542
	v_cmp_le_u32_e64 s[40:41], v243, v64                       // 0000000243C8: D0CB0028 000281F3
	v_add_u32_e32 v243, 64, v243                               // 0000000243D0: 69E7E6C0
	s_nop 0                                                    // 0000000243D4: BF800000
	v_cndmask_b32_e64 v155, v66, v155, s[40:41]                // 0000000243D8: D100009B 00A33742
	v_cmp_le_u32_e64 s[40:41], v240, v64                       // 0000000243E0: D0CB0028 000281F0
	v_add_u32_e32 v240, 64, v240                               // 0000000243E8: 69E1E0C0
	s_nop 0                                                    // 0000000243EC: BF800000
	v_cndmask_b32_e64 v156, v66, v156, s[40:41]                // 0000000243F0: D100009C 00A33942
	v_cmp_le_u32_e64 s[40:41], v241, v64                       // 0000000243F8: D0CB0028 000281F1
	v_add_u32_e32 v241, 64, v241                               // 000000024400: 69E3E2C0
	s_nop 0                                                    // 000000024404: BF800000
	v_cndmask_b32_e64 v157, v66, v157, s[40:41]                // 000000024408: D100009D 00A33B42
	v_cmp_le_u32_e64 s[40:41], v242, v64                       // 000000024410: D0CB0028 000281F2
	v_add_u32_e32 v242, 64, v242                               // 000000024418: 69E5E4C0
	s_nop 0                                                    // 00000002441C: BF800000
	v_cndmask_b32_e64 v158, v66, v158, s[40:41]                // 000000024420: D100009E 00A33D42
	v_cmp_le_u32_e64 s[40:41], v243, v64                       // 000000024428: D0CB0028 000281F3
	v_add_u32_e32 v243, 64, v243                               // 000000024430: 69E7E6C0
	s_nop 0                                                    // 000000024434: BF800000
	v_cndmask_b32_e64 v159, v66, v159, s[40:41]                // 000000024438: D100009F 00A33F42

0000000000024440 <label_8890>:
	v_mov_b32_e32 v48, v144                                    // 000000024440: 7E600390
	v_max3_f32 v48, v144, v145, v48                            // 000000024444: D1D30030 04C32390
	v_max3_f32 v48, v146, v147, v48                            // 00000002444C: D1D30030 04C32792
	v_max3_f32 v48, v148, v149, v48                            // 000000024454: D1D30030 04C32B94
	v_max3_f32 v48, v150, v151, v48                            // 00000002445C: D1D30030 04C32F96
	v_max3_f32 v48, v152, v153, v48                            // 000000024464: D1D30030 04C33398
	v_max3_f32 v48, v154, v155, v48                            // 00000002446C: D1D30030 04C3379A
	v_max3_f32 v48, v156, v157, v48                            // 000000024474: D1D30030 04C33B9C
	v_max3_f32 v48, v158, v159, v48                            // 00000002447C: D1D30030 04C33F9E
	ds_write_b32 v8, v48 offset:16896                          // 000000024484: D81A4200 00003008
	v_mul_f32_e32 v224, v51, v224                              // 00000002448C: 0BC1C133
	v_mul_f32_e32 v225, v51, v225                              // 000000024490: 0BC3C333
	v_mul_f32_e32 v226, v51, v226                              // 000000024494: 0BC5C533
	v_mul_f32_e32 v227, v51, v227                              // 000000024498: 0BC7C733
	v_mul_f32_e32 v228, v51, v228                              // 00000002449C: 0BC9C933
	v_mul_f32_e32 v229, v51, v229                              // 0000000244A0: 0BCBCB33
	v_mul_f32_e32 v230, v51, v230                              // 0000000244A4: 0BCDCD33
	v_mul_f32_e32 v231, v51, v231                              // 0000000244A8: 0BCFCF33
	s_waitcnt lgkmcnt(0)                                       // 0000000244AC: BF8CC07F
	s_barrier                                                  // 0000000244B0: BF8A0000
	ds_read_b32 v64, v7 offset:16896                           // 0000000244B4: D86C4200 40000007
	ds_read_b32 v65, v7 offset:16960                           // 0000000244BC: D86C4240 41000007
	ds_read_b32 v66, v7 offset:17024                           // 0000000244C4: D86C4280 42000007
	ds_read_b32 v67, v7 offset:17088                           // 0000000244CC: D86C42C0 43000007
	ds_read_b32 v68, v7 offset:17152                           // 0000000244D4: D86C4300 44000007
	ds_read_b32 v69, v7 offset:17216                           // 0000000244DC: D86C4340 45000007
	ds_read_b32 v70, v7 offset:17280                           // 0000000244E4: D86C4380 46000007
	ds_read_b32 v71, v7 offset:17344                           // 0000000244EC: D86C43C0 47000007
	ds_read_b32 v72, v7 offset:17408                           // 0000000244F4: D86C4400 48000007
	ds_read_b32 v73, v7 offset:17472                           // 0000000244FC: D86C4440 49000007
	ds_read_b32 v74, v7 offset:17536                           // 000000024504: D86C4480 4A000007
	ds_read_b32 v75, v7 offset:17600                           // 00000002450C: D86C44C0 4B000007
	ds_read_b32 v76, v7 offset:17664                           // 000000024514: D86C4500 4C000007
	ds_read_b32 v77, v7 offset:17728                           // 00000002451C: D86C4540 4D000007
	ds_read_b32 v78, v7 offset:17792                           // 000000024524: D86C4580 4E000007
	ds_read_b32 v79, v7 offset:17856                           // 00000002452C: D86C45C0 4F000007
	v_mul_f32_e32 v192, v46, v192                              // 000000024534: 0B81812E
	v_mul_f32_e32 v193, v46, v193                              // 000000024538: 0B83832E
	v_mul_f32_e32 v194, v46, v194                              // 00000002453C: 0B85852E
	v_mul_f32_e32 v195, v46, v195                              // 000000024540: 0B87872E
	v_mul_f32_e32 v196, v46, v196                              // 000000024544: 0B89892E
	v_mul_f32_e32 v197, v46, v197                              // 000000024548: 0B8B8B2E
	v_mul_f32_e32 v198, v46, v198                              // 00000002454C: 0B8D8D2E
	v_mul_f32_e32 v199, v46, v199                              // 000000024550: 0B8F8F2E
	s_waitcnt lgkmcnt(0)                                       // 000000024554: BF8CC07F
	v_max3_f32 v48, v64, v65, v48                              // 000000024558: D1D30030 04C28340
	v_max3_f32 v48, v66, v67, v48                              // 000000024560: D1D30030 04C28742
	v_max3_f32 v48, v68, v69, v48                              // 000000024568: D1D30030 04C28B44
	v_max3_f32 v48, v70, v71, v48                              // 000000024570: D1D30030 04C28F46
	v_max3_f32 v48, v72, v73, v48                              // 000000024578: D1D30030 04C29348
	v_max3_f32 v48, v74, v75, v48                              // 000000024580: D1D30030 04C2974A
	v_max3_f32 v48, v76, v77, v48                              // 000000024588: D1D30030 04C29B4C
	v_max3_f32 v48, v78, v79, v48                              // 000000024590: D1D30030 04C29F4E
	v_mov_b32_e32 v64, 0xff800000                              // 000000024598: 7E8002FF FF800000
	v_cmp_eq_u32_e64 s[40:41], v64, v13                        // 0000000245A0: D0CA0028 00021B40
	s_nop 1                                                    // 0000000245A8: BF800001
	v_max_f32_e32 v15, v48, v13                                // 0000000245AC: 161E1B30
	v_mul_f32_e32 v53, s64, v15                                // 0000000245B0: 0A6A1E40
	v_fma_f32 v144, v144, s64, -v53                            // 0000000245B4: D1CB0090 84D48190
	v_fma_f32 v145, v145, s64, -v53                            // 0000000245BC: D1CB0091 84D48191
	v_fma_f32 v146, v146, s64, -v53                            // 0000000245C4: D1CB0092 84D48192
	v_fma_f32 v147, v147, s64, -v53                            // 0000000245CC: D1CB0093 84D48193
	v_fma_f32 v148, v148, s64, -v53                            // 0000000245D4: D1CB0094 84D48194
	v_fma_f32 v149, v149, s64, -v53                            // 0000000245DC: D1CB0095 84D48195
	v_fma_f32 v150, v150, s64, -v53                            // 0000000245E4: D1CB0096 84D48196
	v_fma_f32 v151, v151, s64, -v53                            // 0000000245EC: D1CB0097 84D48197
	v_fma_f32 v152, v152, s64, -v53                            // 0000000245F4: D1CB0098 84D48198
	v_fma_f32 v153, v153, s64, -v53                            // 0000000245FC: D1CB0099 84D48199
	v_fma_f32 v154, v154, s64, -v53                            // 000000024604: D1CB009A 84D4819A
	v_fma_f32 v155, v155, s64, -v53                            // 00000002460C: D1CB009B 84D4819B
	v_fma_f32 v156, v156, s64, -v53                            // 000000024614: D1CB009C 84D4819C
	v_fma_f32 v157, v157, s64, -v53                            // 00000002461C: D1CB009D 84D4819D
	v_fma_f32 v158, v158, s64, -v53                            // 000000024624: D1CB009E 84D4819E
	v_fma_f32 v159, v159, s64, -v53                            // 00000002462C: D1CB009F 84D4819F
	v_exp_f32_e32 v144, v144                                   // 000000024634: 7F204190
	v_exp_f32_e32 v145, v145                                   // 000000024638: 7F224191
	v_exp_f32_e32 v146, v146                                   // 00000002463C: 7F244192
	v_exp_f32_e32 v147, v147                                   // 000000024640: 7F264193
	v_exp_f32_e32 v148, v148                                   // 000000024644: 7F284194
	v_exp_f32_e32 v149, v149                                   // 000000024648: 7F2A4195
	v_exp_f32_e32 v150, v150                                   // 00000002464C: 7F2C4196
	v_exp_f32_e32 v151, v151                                   // 000000024650: 7F2E4197
	v_exp_f32_e32 v152, v152                                   // 000000024654: 7F304198
	v_exp_f32_e32 v153, v153                                   // 000000024658: 7F324199
	v_exp_f32_e32 v154, v154                                   // 00000002465C: 7F34419A
	v_exp_f32_e32 v155, v155                                   // 000000024660: 7F36419B
	v_exp_f32_e32 v156, v156                                   // 000000024664: 7F38419C
	v_exp_f32_e32 v157, v157                                   // 000000024668: 7F3A419D
	v_exp_f32_e32 v158, v158                                   // 00000002466C: 7F3C419E
	v_exp_f32_e32 v159, v159                                   // 000000024670: 7F3E419F
	v_mul_f32_dpp v240, v252, v144 quad_perm:[0,0,0,0] row_mask:0xf bank_mask:0xf// 000000024674: 0BE120FA FF0000FC
	v_mul_f32_dpp v241, v252, v145 quad_perm:[1,1,1,1] row_mask:0xf bank_mask:0xf// 00000002467C: 0BE322FA FF0055FC
	v_mul_f32_dpp v242, v252, v146 quad_perm:[2,2,2,2] row_mask:0xf bank_mask:0xf// 000000024684: 0BE524FA FF00AAFC
	v_mul_f32_dpp v243, v252, v147 quad_perm:[3,3,3,3] row_mask:0xf bank_mask:0xf// 00000002468C: 0BE726FA FF00FFFC
	v_mul_f32_dpp v244, v253, v148 quad_perm:[0,0,0,0] row_mask:0xf bank_mask:0xf// 000000024694: 0BE928FA FF0000FD
	v_mul_f32_dpp v245, v253, v149 quad_perm:[1,1,1,1] row_mask:0xf bank_mask:0xf// 00000002469C: 0BEB2AFA FF0055FD
	v_mul_f32_dpp v246, v253, v150 quad_perm:[2,2,2,2] row_mask:0xf bank_mask:0xf// 0000000246A4: 0BED2CFA FF00AAFD
	v_mul_f32_dpp v247, v253, v151 quad_perm:[3,3,3,3] row_mask:0xf bank_mask:0xf// 0000000246AC: 0BEF2EFA FF00FFFD
	v_mul_f32_dpp v248, v254, v152 quad_perm:[0,0,0,0] row_mask:0xf bank_mask:0xf// 0000000246B4: 0BF130FA FF0000FE
	v_mul_f32_dpp v249, v254, v153 quad_perm:[1,1,1,1] row_mask:0xf bank_mask:0xf// 0000000246BC: 0BF332FA FF0055FE
	v_mul_f32_dpp v250, v254, v154 quad_perm:[2,2,2,2] row_mask:0xf bank_mask:0xf// 0000000246C4: 0BF534FA FF00AAFE
	v_mul_f32_dpp v251, v254, v155 quad_perm:[3,3,3,3] row_mask:0xf bank_mask:0xf// 0000000246CC: 0BF736FA FF00FFFE
	v_mul_f32_dpp v252, v255, v156 quad_perm:[0,0,0,0] row_mask:0xf bank_mask:0xf// 0000000246D4: 0BF938FA FF0000FF
	v_mul_f32_dpp v253, v255, v157 quad_perm:[1,1,1,1] row_mask:0xf bank_mask:0xf// 0000000246DC: 0BFB3AFA FF0055FF
	v_mul_f32_dpp v254, v255, v158 quad_perm:[2,2,2,2] row_mask:0xf bank_mask:0xf// 0000000246E4: 0BFD3CFA FF00AAFF
	v_mul_f32_dpp v255, v255, v159 quad_perm:[3,3,3,3] row_mask:0xf bank_mask:0xf// 0000000246EC: 0BFF3EFA FF00FFFF
	v_mov_b32_e32 v48, 0x358637bd                              // 0000000246F4: 7E6002FF 358637BD
	v_max3_f32 v48, |v240|, |v241|, v48                        // 0000000246FC: D1D30330 04C3E3F0
	v_max3_f32 v48, |v242|, |v243|, v48                        // 000000024704: D1D30330 04C3E7F2
	v_max3_f32 v48, |v244|, |v245|, v48                        // 00000002470C: D1D30330 04C3EBF4
	v_max3_f32 v48, |v246|, |v247|, v48                        // 000000024714: D1D30330 04C3EFF6
	v_max3_f32 v48, |v248|, |v249|, v48                        // 00000002471C: D1D30330 04C3F3F8
	v_max3_f32 v48, |v250|, |v251|, v48                        // 000000024724: D1D30330 04C3F7FA
	v_max3_f32 v48, |v252|, |v253|, v48                        // 00000002472C: D1D30330 04C3FBFC
	v_max3_f32 v48, |v254|, |v255|, v48                        // 000000024734: D1D30330 04C3FFFE
	ds_write_b32 v8, v48 offset:20992                          // 00000002473C: D81A5200 00003008
	v_sub_f32_e32 v51, v13, v15                                // 000000024744: 04661F0D
	v_cndmask_b32_e64 v51, v51, 0, s[40:41]                    // 000000024748: D1000033 00A10133
	v_mov_b32_e32 v13, v15                                     // 000000024750: 7E1A030F
	v_mul_f32_e32 v51, s64, v51                                // 000000024754: 0A666640
	v_exp_f32_e32 v51, v51                                     // 000000024758: 7E664133
	s_waitcnt lgkmcnt(0)                                       // 00000002475C: BF8CC07F
	s_barrier                                                  // 000000024760: BF8A0000
	ds_read_b32 v64, v7 offset:20992                           // 000000024764: D86C5200 40000007
	ds_read_b32 v65, v7 offset:21056                           // 00000002476C: D86C5240 41000007
	ds_read_b32 v66, v7 offset:21120                           // 000000024774: D86C5280 42000007
	ds_read_b32 v67, v7 offset:21184                           // 00000002477C: D86C52C0 43000007
	ds_read_b32 v68, v7 offset:21248                           // 000000024784: D86C5300 44000007
	ds_read_b32 v69, v7 offset:21312                           // 00000002478C: D86C5340 45000007
	ds_read_b32 v70, v7 offset:21376                           // 000000024794: D86C5380 46000007
	ds_read_b32 v71, v7 offset:21440                           // 00000002479C: D86C53C0 47000007
	ds_read_b32 v72, v7 offset:21504                           // 0000000247A4: D86C5400 48000007
	ds_read_b32 v73, v7 offset:21568                           // 0000000247AC: D86C5440 49000007
	ds_read_b32 v74, v7 offset:21632                           // 0000000247B4: D86C5480 4A000007
	ds_read_b32 v75, v7 offset:21696                           // 0000000247BC: D86C54C0 4B000007
	ds_read_b32 v76, v7 offset:21760                           // 0000000247C4: D86C5500 4C000007
	ds_read_b32 v77, v7 offset:21824                           // 0000000247CC: D86C5540 4D000007
	ds_read_b32 v78, v7 offset:21888                           // 0000000247D4: D86C5580 4E000007
	ds_read_b32 v79, v7 offset:21952                           // 0000000247DC: D86C55C0 4F000007
	v_mul_f32_e32 v40, v51, v40                                // 0000000247E4: 0A505133
	v_mov_b32_e32 v15, v144                                    // 0000000247E8: 7E1E0390
	v_add_f32_e32 v15, v145, v15                               // 0000000247EC: 021E1F91
	v_add_f32_e32 v15, v146, v15                               // 0000000247F0: 021E1F92
	v_add_f32_e32 v15, v147, v15                               // 0000000247F4: 021E1F93
	v_add_f32_e32 v15, v148, v15                               // 0000000247F8: 021E1F94
	v_add_f32_e32 v15, v149, v15                               // 0000000247FC: 021E1F95
	v_add_f32_e32 v15, v150, v15                               // 000000024800: 021E1F96
	v_add_f32_e32 v15, v151, v15                               // 000000024804: 021E1F97
	v_add_f32_e32 v15, v152, v15                               // 000000024808: 021E1F98
	v_add_f32_e32 v15, v153, v15                               // 00000002480C: 021E1F99
	v_add_f32_e32 v15, v154, v15                               // 000000024810: 021E1F9A
	v_add_f32_e32 v15, v155, v15                               // 000000024814: 021E1F9B
	v_add_f32_e32 v15, v156, v15                               // 000000024818: 021E1F9C
	v_add_f32_e32 v15, v157, v15                               // 00000002481C: 021E1F9D
	v_add_f32_e32 v15, v158, v15                               // 000000024820: 021E1F9E
	v_add_f32_e32 v15, v159, v15                               // 000000024824: 021E1F9F
	v_add_f32_e32 v40, v15, v40                                // 000000024828: 0250510F
	s_waitcnt lgkmcnt(0)                                       // 00000002482C: BF8CC07F
	v_max3_f32 v48, |v64|, |v65|, v48                          // 000000024830: D1D30330 04C28340
	v_max3_f32 v48, |v66|, |v67|, v48                          // 000000024838: D1D30330 04C28742
	v_max3_f32 v48, |v68|, |v69|, v48                          // 000000024840: D1D30330 04C28B44
	v_max3_f32 v48, |v70|, |v71|, v48                          // 000000024848: D1D30330 04C28F46
	v_max3_f32 v48, |v72|, |v73|, v48                          // 000000024850: D1D30330 04C29348
	v_max3_f32 v48, |v74|, |v75|, v48                          // 000000024858: D1D30330 04C2974A
	v_max3_f32 v48, |v76|, |v77|, v48                          // 000000024860: D1D30330 04C29B4C
	v_max3_f32 v48, |v78|, |v79|, v48                          // 000000024868: D1D30330 04C29F4E
	s_nop 2                                                    // 000000024870: BF800002
	v_rcp_f32_e32 v48, v48                                     // 000000024874: 7E604530
	s_nop 1                                                    // 000000024878: BF800001
	v_mul_f32_e32 v48, 0x43700000, v48                         // 00000002487C: 0A6060FF 43700000
	v_mul_f32_e32 v144, v48, v240                              // 000000024884: 0B21E130
	v_mul_f32_e32 v145, v48, v241                              // 000000024888: 0B23E330
	v_mul_f32_e32 v146, v48, v242                              // 00000002488C: 0B25E530
	v_mul_f32_e32 v147, v48, v243                              // 000000024890: 0B27E730
	v_mul_f32_e32 v148, v48, v244                              // 000000024894: 0B29E930
	v_mul_f32_e32 v149, v48, v245                              // 000000024898: 0B2BEB30
	v_mul_f32_e32 v150, v48, v246                              // 00000002489C: 0B2DED30
	v_mul_f32_e32 v151, v48, v247                              // 0000000248A0: 0B2FEF30
	v_mul_f32_e32 v152, v48, v248                              // 0000000248A4: 0B31F130
	v_mul_f32_e32 v153, v48, v249                              // 0000000248A8: 0B33F330
	v_mul_f32_e32 v154, v48, v250                              // 0000000248AC: 0B35F530
	v_mul_f32_e32 v155, v48, v251                              // 0000000248B0: 0B37F730
	v_mul_f32_e32 v156, v48, v252                              // 0000000248B4: 0B39F930
	v_mul_f32_e32 v157, v48, v253                              // 0000000248B8: 0B3BFB30
	v_mul_f32_e32 v158, v48, v254                              // 0000000248BC: 0B3DFD30
	v_mul_f32_e32 v159, v48, v255                              // 0000000248C0: 0B3FFF30
	v_cvt_pk_fp8_f32 v144, v144, v145                          // 0000000248C4: D2A20090 00032390
	v_cvt_pk_fp8_f32 v144, v146, v147 op_sel:[0,0,1]           // 0000000248CC: D2A24090 00032792
	v_cvt_pk_fp8_f32 v145, v148, v149                          // 0000000248D4: D2A20091 00032B94
	v_cvt_pk_fp8_f32 v145, v150, v151 op_sel:[0,0,1]           // 0000000248DC: D2A24091 00032F96
	v_cvt_pk_fp8_f32 v146, v152, v153                          // 0000000248E4: D2A20092 00033398
	v_cvt_pk_fp8_f32 v146, v154, v155 op_sel:[0,0,1]           // 0000000248EC: D2A24092 0003379A
	v_cvt_pk_fp8_f32 v147, v156, v157                          // 0000000248F4: D2A20093 00033B9C
	v_cvt_pk_fp8_f32 v147, v158, v159 op_sel:[0,0,1]           // 0000000248FC: D2A24093 00033F9E
	ds_write_b32 v10, v144 offset:33280                        // 000000024904: D81A8200 0000900A
	ds_write_b32 v10, v145 offset:34304                        // 00000002490C: D81A8600 0000910A
	ds_write_b32 v10, v146 offset:35328                        // 000000024914: D81A8A00 0000920A
	ds_write_b32 v10, v147 offset:36352                        // 00000002491C: D81A8E00 0000930A
	v_add_f32_e32 v224, v224, v192                             // 000000024924: 03C181E0
	v_add_f32_e32 v225, v225, v193                             // 000000024928: 03C383E1
	v_add_f32_e32 v226, v226, v194                             // 00000002492C: 03C585E2
	v_add_f32_e32 v227, v227, v195                             // 000000024930: 03C787E3
	v_add_f32_e32 v228, v228, v196                             // 000000024934: 03C989E4
	v_add_f32_e32 v229, v229, v197                             // 000000024938: 03CB8BE5
	v_add_f32_e32 v230, v230, v198                             // 00000002493C: 03CD8DE6
	v_add_f32_e32 v231, v231, v199                             // 000000024940: 03CF8FE7
	v_rcp_f32_e32 v46, v48                                     // 000000024944: 7E5C4530
	s_waitcnt lgkmcnt(0)                                       // 000000024948: BF8CC07F
	s_barrier                                                  // 00000002494C: BF8A0000
	ds_read_b64 v[144:145], v9 offset:33280                    // 000000024950: D8EC8200 90000009
	ds_read_b64 v[146:147], v9 offset:33408                    // 000000024958: D8EC8280 92000009
	ds_read_b64 v[148:149], v9 offset:34304                    // 000000024960: D8EC8600 94000009
	ds_read_b64 v[150:151], v9 offset:34432                    // 000000024968: D8EC8680 96000009
	ds_read_b64 v[152:153], v9 offset:35328                    // 000000024970: D8EC8A00 98000009
	ds_read_b64 v[154:155], v9 offset:35456                    // 000000024978: D8EC8A80 9A000009
	ds_read_b64 v[156:157], v9 offset:36352                    // 000000024980: D8EC8E00 9C000009
	ds_read_b64 v[158:159], v9 offset:36480                    // 000000024988: D8EC8E80 9E000009
	v_mov_b32_dpp v64, v42 row_shr:4 row_mask:0xf bank_mask:0xf// 000000024990: 7E8002FA FF01142A
	v_mov_b32_dpp v65, v42 row_shl:4 row_mask:0xf bank_mask:0xf// 000000024998: 7E8202FA FF01042A
	v_cndmask_b32_e64 v248, v42, v64, s[44:45]                 // 0000000249A0: D10000F8 00B2812A
	v_cndmask_b32_e64 v249, v65, v42, s[44:45]                 // 0000000249A8: D10000F9 00B25541
	v_mov_b32_dpp v64, v248 row_shr:8 row_mask:0xf bank_mask:0xf// 0000000249B0: 7E8002FA FF0118F8
	v_mov_b32_dpp v65, v248 row_shl:8 row_mask:0xf bank_mask:0xf// 0000000249B8: 7E8202FA FF0108F8
	v_mov_b32_dpp v66, v249 row_shr:8 row_mask:0xf bank_mask:0xf// 0000000249C0: 7E8402FA FF0118F9
	v_mov_b32_dpp v67, v249 row_shl:8 row_mask:0xf bank_mask:0xf// 0000000249C8: 7E8602FA FF0108F9
	v_mov_b32_e32 v68, v248                                    // 0000000249D0: 7E8803F8
	v_mov_b32_e32 v69, v249                                    // 0000000249D4: 7E8A03F9
	v_cndmask_b32_e64 v248, v68, v64, s[42:43]                 // 0000000249D8: D10000F8 00AA8144
	v_cndmask_b32_e64 v250, v68, v65, s[78:79]                 // 0000000249E0: D10000FA 013A8344
	v_cndmask_b32_e64 v249, v69, v66, s[42:43]                 // 0000000249E8: D10000F9 00AA8545
	v_cndmask_b32_e64 v251, v69, v67, s[78:79]                 // 0000000249F0: D10000FB 013A8745
	v_mov_b32_dpp v64, v57 row_shr:4 row_mask:0xf bank_mask:0xf// 0000000249F8: 7E8002FA FF011439
	v_mov_b32_dpp v65, v57 row_shl:4 row_mask:0xf bank_mask:0xf// 000000024A00: 7E8202FA FF010439
	v_cndmask_b32_e64 v252, v57, v64, s[44:45]                 // 000000024A08: D10000FC 00B28139
	v_cndmask_b32_e64 v253, v65, v57, s[44:45]                 // 000000024A10: D10000FD 00B27341
	v_mov_b32_dpp v64, v252 row_shr:8 row_mask:0xf bank_mask:0xf// 000000024A18: 7E8002FA FF0118FC
	v_mov_b32_dpp v65, v252 row_shl:8 row_mask:0xf bank_mask:0xf// 000000024A20: 7E8202FA FF0108FC
	v_mov_b32_dpp v66, v253 row_shr:8 row_mask:0xf bank_mask:0xf// 000000024A28: 7E8402FA FF0118FD
	v_mov_b32_dpp v67, v253 row_shl:8 row_mask:0xf bank_mask:0xf// 000000024A30: 7E8602FA FF0108FD
	v_mov_b32_e32 v68, v252                                    // 000000024A38: 7E8803FC
	v_mov_b32_e32 v69, v253                                    // 000000024A3C: 7E8A03FD
	v_cndmask_b32_e64 v252, v68, v64, s[42:43]                 // 000000024A40: D10000FC 00AA8144
	v_cndmask_b32_e64 v254, v68, v65, s[78:79]                 // 000000024A48: D10000FE 013A8344
	v_cndmask_b32_e64 v253, v69, v66, s[42:43]                 // 000000024A50: D10000FD 00AA8545
	v_cndmask_b32_e64 v255, v69, v67, s[78:79]                 // 000000024A58: D10000FF 013A8745
	v_mul_f32_e32 v160, v21, v160                              // 000000024A60: 0B414115
	v_mul_f32_e32 v161, v21, v161                              // 000000024A64: 0B434315
	v_mul_f32_e32 v162, v21, v162                              // 000000024A68: 0B454515
	v_mul_f32_e32 v163, v21, v163                              // 000000024A6C: 0B474715
	v_mul_f32_e32 v164, v21, v164                              // 000000024A70: 0B494915
	v_mul_f32_e32 v165, v21, v165                              // 000000024A74: 0B4B4B15
	v_mul_f32_e32 v166, v21, v166                              // 000000024A78: 0B4D4D15
	v_mul_f32_e32 v167, v21, v167                              // 000000024A7C: 0B4F4F15
	v_mul_f32_e32 v168, v21, v168                              // 000000024A80: 0B515115
	v_mul_f32_e32 v169, v21, v169                              // 000000024A84: 0B535315
	v_mul_f32_e32 v170, v21, v170                              // 000000024A88: 0B555515
	v_mul_f32_e32 v171, v21, v171                              // 000000024A8C: 0B575715
	v_mul_f32_e32 v172, v21, v172                              // 000000024A90: 0B595915
	v_mul_f32_e32 v173, v21, v173                              // 000000024A94: 0B5B5B15
	v_mul_f32_e32 v174, v21, v174                              // 000000024A98: 0B5D5D15
	v_mul_f32_e32 v175, v21, v175                              // 000000024A9C: 0B5F5F15
	v_mul_f32_dpp v160, v248, v160 quad_perm:[0,0,0,0] row_mask:0xf bank_mask:0xf// 000000024AA0: 0B4140FA FF0000F8
	v_mul_f32_dpp v161, v248, v161 quad_perm:[1,1,1,1] row_mask:0xf bank_mask:0xf// 000000024AA8: 0B4342FA FF0055F8
	v_mul_f32_dpp v162, v248, v162 quad_perm:[2,2,2,2] row_mask:0xf bank_mask:0xf// 000000024AB0: 0B4544FA FF00AAF8
	v_mul_f32_dpp v163, v248, v163 quad_perm:[3,3,3,3] row_mask:0xf bank_mask:0xf// 000000024AB8: 0B4746FA FF00FFF8
	v_mul_f32_dpp v164, v249, v164 quad_perm:[0,0,0,0] row_mask:0xf bank_mask:0xf// 000000024AC0: 0B4948FA FF0000F9
	v_mul_f32_dpp v165, v249, v165 quad_perm:[1,1,1,1] row_mask:0xf bank_mask:0xf// 000000024AC8: 0B4B4AFA FF0055F9
	v_mul_f32_dpp v166, v249, v166 quad_perm:[2,2,2,2] row_mask:0xf bank_mask:0xf// 000000024AD0: 0B4D4CFA FF00AAF9
	v_mul_f32_dpp v167, v249, v167 quad_perm:[3,3,3,3] row_mask:0xf bank_mask:0xf// 000000024AD8: 0B4F4EFA FF00FFF9
	v_mul_f32_dpp v168, v250, v168 quad_perm:[0,0,0,0] row_mask:0xf bank_mask:0xf// 000000024AE0: 0B5150FA FF0000FA
	v_mul_f32_dpp v169, v250, v169 quad_perm:[1,1,1,1] row_mask:0xf bank_mask:0xf// 000000024AE8: 0B5352FA FF0055FA
	v_mul_f32_dpp v170, v250, v170 quad_perm:[2,2,2,2] row_mask:0xf bank_mask:0xf// 000000024AF0: 0B5554FA FF00AAFA
	v_mul_f32_dpp v171, v250, v171 quad_perm:[3,3,3,3] row_mask:0xf bank_mask:0xf// 000000024AF8: 0B5756FA FF00FFFA
	v_mul_f32_dpp v172, v251, v172 quad_perm:[0,0,0,0] row_mask:0xf bank_mask:0xf// 000000024B00: 0B5958FA FF0000FB
	v_mul_f32_dpp v173, v251, v173 quad_perm:[1,1,1,1] row_mask:0xf bank_mask:0xf// 000000024B08: 0B5B5AFA FF0055FB
	v_mul_f32_dpp v174, v251, v174 quad_perm:[2,2,2,2] row_mask:0xf bank_mask:0xf// 000000024B10: 0B5D5CFA FF00AAFB
	v_mul_f32_dpp v175, v251, v175 quad_perm:[3,3,3,3] row_mask:0xf bank_mask:0xf// 000000024B18: 0B5F5EFA FF00FFFB
	s_cmp_le_i32 s90, s89                                      // 000000024B20: BF05595A
	s_cbranch_scc1 label_8ABB                                  // 000000024B24: BF850071
	v_mov_b32_e32 v66, 0xff800000                              // 000000024B28: 7E8402FF FF800000
	s_mov_b32 s60, s90                                         // 000000024B30: BEBC005A
	s_add_u32 s61, s89, 0xff                                   // 000000024B34: 803DFF59 000000FF
	v_mov_b32_e32 v64, s61                                     // 000000024B3C: 7E80023D
	v_lshrrev_b32_e32 v240, 4, v0                              // 000000024B40: 21E00084
	v_mul_i32_i24_e32 v240, 4, v240                            // 000000024B44: 0DE1E084
	v_add_u32_e32 v240, s60, v240                              // 000000024B48: 69E1E03C
	s_mov_b32 s61, 3                                           // 000000024B4C: BEBD0083
	s_mul_i32 s60, 16, s7                                      // 000000024B50: 923C0790
	v_sub_u32_e64 v240, v240, s61                              // 000000024B54: D13500F0 00007BF0
	v_add_u32_e32 v240, s60, v240                              // 000000024B5C: 69E1E03C
	v_add_u32_e32 v241, 1, v240                                // 000000024B60: 69E3E081
	v_add_u32_e32 v242, 2, v240                                // 000000024B64: 69E5E082
	v_add_u32_e32 v243, 3, v240                                // 000000024B68: 69E7E083
	v_cmp_le_u32_e64 s[40:41], v240, v64                       // 000000024B6C: D0CB0028 000281F0
	v_add_u32_e32 v240, 64, v240                               // 000000024B74: 69E1E0C0
	s_nop 0                                                    // 000000024B78: BF800000
	v_cndmask_b32_e64 v160, v66, v160, s[40:41]                // 000000024B7C: D10000A0 00A34142
	v_cmp_le_u32_e64 s[40:41], v241, v64                       // 000000024B84: D0CB0028 000281F1
	v_add_u32_e32 v241, 64, v241                               // 000000024B8C: 69E3E2C0
	s_nop 0                                                    // 000000024B90: BF800000
	v_cndmask_b32_e64 v161, v66, v161, s[40:41]                // 000000024B94: D10000A1 00A34342
	v_cmp_le_u32_e64 s[40:41], v242, v64                       // 000000024B9C: D0CB0028 000281F2
	v_add_u32_e32 v242, 64, v242                               // 000000024BA4: 69E5E4C0
	s_nop 0                                                    // 000000024BA8: BF800000
	v_cndmask_b32_e64 v162, v66, v162, s[40:41]                // 000000024BAC: D10000A2 00A34542
	v_cmp_le_u32_e64 s[40:41], v243, v64                       // 000000024BB4: D0CB0028 000281F3
	v_add_u32_e32 v243, 64, v243                               // 000000024BBC: 69E7E6C0
	s_nop 0                                                    // 000000024BC0: BF800000
	v_cndmask_b32_e64 v163, v66, v163, s[40:41]                // 000000024BC4: D10000A3 00A34742
	v_cmp_le_u32_e64 s[40:41], v240, v64                       // 000000024BCC: D0CB0028 000281F0
	v_add_u32_e32 v240, 64, v240                               // 000000024BD4: 69E1E0C0
	s_nop 0                                                    // 000000024BD8: BF800000
	v_cndmask_b32_e64 v164, v66, v164, s[40:41]                // 000000024BDC: D10000A4 00A34942
	v_cmp_le_u32_e64 s[40:41], v241, v64                       // 000000024BE4: D0CB0028 000281F1
	v_add_u32_e32 v241, 64, v241                               // 000000024BEC: 69E3E2C0
	s_nop 0                                                    // 000000024BF0: BF800000
	v_cndmask_b32_e64 v165, v66, v165, s[40:41]                // 000000024BF4: D10000A5 00A34B42
	v_cmp_le_u32_e64 s[40:41], v242, v64                       // 000000024BFC: D0CB0028 000281F2
	v_add_u32_e32 v242, 64, v242                               // 000000024C04: 69E5E4C0
	s_nop 0                                                    // 000000024C08: BF800000
	v_cndmask_b32_e64 v166, v66, v166, s[40:41]                // 000000024C0C: D10000A6 00A34D42
	v_cmp_le_u32_e64 s[40:41], v243, v64                       // 000000024C14: D0CB0028 000281F3
	v_add_u32_e32 v243, 64, v243                               // 000000024C1C: 69E7E6C0
	s_nop 0                                                    // 000000024C20: BF800000
	v_cndmask_b32_e64 v167, v66, v167, s[40:41]                // 000000024C24: D10000A7 00A34F42
	v_cmp_le_u32_e64 s[40:41], v240, v64                       // 000000024C2C: D0CB0028 000281F0
	v_add_u32_e32 v240, 64, v240                               // 000000024C34: 69E1E0C0
	s_nop 0                                                    // 000000024C38: BF800000
	v_cndmask_b32_e64 v168, v66, v168, s[40:41]                // 000000024C3C: D10000A8 00A35142
	v_cmp_le_u32_e64 s[40:41], v241, v64                       // 000000024C44: D0CB0028 000281F1
	v_add_u32_e32 v241, 64, v241                               // 000000024C4C: 69E3E2C0
	s_nop 0                                                    // 000000024C50: BF800000
	v_cndmask_b32_e64 v169, v66, v169, s[40:41]                // 000000024C54: D10000A9 00A35342
	v_cmp_le_u32_e64 s[40:41], v242, v64                       // 000000024C5C: D0CB0028 000281F2
	v_add_u32_e32 v242, 64, v242                               // 000000024C64: 69E5E4C0
	s_nop 0                                                    // 000000024C68: BF800000
	v_cndmask_b32_e64 v170, v66, v170, s[40:41]                // 000000024C6C: D10000AA 00A35542
	v_cmp_le_u32_e64 s[40:41], v243, v64                       // 000000024C74: D0CB0028 000281F3
	v_add_u32_e32 v243, 64, v243                               // 000000024C7C: 69E7E6C0
	s_nop 0                                                    // 000000024C80: BF800000
	v_cndmask_b32_e64 v171, v66, v171, s[40:41]                // 000000024C84: D10000AB 00A35742
	v_cmp_le_u32_e64 s[40:41], v240, v64                       // 000000024C8C: D0CB0028 000281F0
	v_add_u32_e32 v240, 64, v240                               // 000000024C94: 69E1E0C0
	s_nop 0                                                    // 000000024C98: BF800000
	v_cndmask_b32_e64 v172, v66, v172, s[40:41]                // 000000024C9C: D10000AC 00A35942
	v_cmp_le_u32_e64 s[40:41], v241, v64                       // 000000024CA4: D0CB0028 000281F1
	v_add_u32_e32 v241, 64, v241                               // 000000024CAC: 69E3E2C0
	s_nop 0                                                    // 000000024CB0: BF800000
	v_cndmask_b32_e64 v173, v66, v173, s[40:41]                // 000000024CB4: D10000AD 00A35B42
	v_cmp_le_u32_e64 s[40:41], v242, v64                       // 000000024CBC: D0CB0028 000281F2
	v_add_u32_e32 v242, 64, v242                               // 000000024CC4: 69E5E4C0
	s_nop 0                                                    // 000000024CC8: BF800000
	v_cndmask_b32_e64 v174, v66, v174, s[40:41]                // 000000024CCC: D10000AE 00A35D42
	v_cmp_le_u32_e64 s[40:41], v243, v64                       // 000000024CD4: D0CB0028 000281F3
	v_add_u32_e32 v243, 64, v243                               // 000000024CDC: 69E7E6C0
	s_nop 0                                                    // 000000024CE0: BF800000
	v_cndmask_b32_e64 v175, v66, v175, s[40:41]                // 000000024CE4: D10000AF 00A35F42

0000000000024cec <label_8ABB>:
	s_add_u32 s90, s91, s90                                    // 000000024CEC: 805A5A5B
	v_mov_b32_e32 v48, v160                                    // 000000024CF0: 7E6003A0
	v_max3_f32 v48, v160, v161, v48                            // 000000024CF4: D1D30030 04C343A0
	v_max3_f32 v48, v162, v163, v48                            // 000000024CFC: D1D30030 04C347A2
	v_max3_f32 v48, v164, v165, v48                            // 000000024D04: D1D30030 04C34BA4
	v_max3_f32 v48, v166, v167, v48                            // 000000024D0C: D1D30030 04C34FA6
	v_max3_f32 v48, v168, v169, v48                            // 000000024D14: D1D30030 04C353A8
	v_max3_f32 v48, v170, v171, v48                            // 000000024D1C: D1D30030 04C357AA
	v_max3_f32 v48, v172, v173, v48                            // 000000024D24: D1D30030 04C35BAC
	v_max3_f32 v48, v174, v175, v48                            // 000000024D2C: D1D30030 04C35FAE
	ds_write_b32 v8, v48 offset:16896                          // 000000024D34: D81A4200 00003008
	v_mul_f32_e32 v232, v52, v232                              // 000000024D3C: 0BD1D134
	v_mul_f32_e32 v233, v52, v233                              // 000000024D40: 0BD3D334
	v_mul_f32_e32 v234, v52, v234                              // 000000024D44: 0BD5D534
	v_mul_f32_e32 v235, v52, v235                              // 000000024D48: 0BD7D734
	v_mul_f32_e32 v236, v52, v236                              // 000000024D4C: 0BD9D934
	v_mul_f32_e32 v237, v52, v237                              // 000000024D50: 0BDBDB34
	v_mul_f32_e32 v238, v52, v238                              // 000000024D54: 0BDDDD34
	v_mul_f32_e32 v239, v52, v239                              // 000000024D58: 0BDFDF34
	s_waitcnt lgkmcnt(0)                                       // 000000024D5C: BF8CC07F
	s_barrier                                                  // 000000024D60: BF8A0000
	ds_read_b32 v64, v7 offset:16896                           // 000000024D64: D86C4200 40000007
	ds_read_b32 v65, v7 offset:16960                           // 000000024D6C: D86C4240 41000007
	ds_read_b32 v66, v7 offset:17024                           // 000000024D74: D86C4280 42000007
	ds_read_b32 v67, v7 offset:17088                           // 000000024D7C: D86C42C0 43000007
	ds_read_b32 v68, v7 offset:17152                           // 000000024D84: D86C4300 44000007
	ds_read_b32 v69, v7 offset:17216                           // 000000024D8C: D86C4340 45000007
	ds_read_b32 v70, v7 offset:17280                           // 000000024D94: D86C4380 46000007
	ds_read_b32 v71, v7 offset:17344                           // 000000024D9C: D86C43C0 47000007
	ds_read_b32 v72, v7 offset:17408                           // 000000024DA4: D86C4400 48000007
	ds_read_b32 v73, v7 offset:17472                           // 000000024DAC: D86C4440 49000007
	ds_read_b32 v74, v7 offset:17536                           // 000000024DB4: D86C4480 4A000007
	ds_read_b32 v75, v7 offset:17600                           // 000000024DBC: D86C44C0 4B000007
	ds_read_b32 v76, v7 offset:17664                           // 000000024DC4: D86C4500 4C000007
	ds_read_b32 v77, v7 offset:17728                           // 000000024DCC: D86C4540 4D000007
	ds_read_b32 v78, v7 offset:17792                           // 000000024DD4: D86C4580 4E000007
	ds_read_b32 v79, v7 offset:17856                           // 000000024DDC: D86C45C0 4F000007
	v_mul_f32_e32 v200, v47, v200                              // 000000024DE4: 0B91912F
	v_mul_f32_e32 v201, v47, v201                              // 000000024DE8: 0B93932F
	v_mul_f32_e32 v202, v47, v202                              // 000000024DEC: 0B95952F
	v_mul_f32_e32 v203, v47, v203                              // 000000024DF0: 0B97972F
	v_mul_f32_e32 v204, v47, v204                              // 000000024DF4: 0B99992F
	v_mul_f32_e32 v205, v47, v205                              // 000000024DF8: 0B9B9B2F
	v_mul_f32_e32 v206, v47, v206                              // 000000024DFC: 0B9D9D2F
	v_mul_f32_e32 v207, v47, v207                              // 000000024E00: 0B9F9F2F
	s_waitcnt lgkmcnt(0)                                       // 000000024E04: BF8CC07F
	v_max3_f32 v48, v64, v65, v48                              // 000000024E08: D1D30030 04C28340
	v_max3_f32 v48, v66, v67, v48                              // 000000024E10: D1D30030 04C28742
	v_max3_f32 v48, v68, v69, v48                              // 000000024E18: D1D30030 04C28B44
	v_max3_f32 v48, v70, v71, v48                              // 000000024E20: D1D30030 04C28F46
	v_max3_f32 v48, v72, v73, v48                              // 000000024E28: D1D30030 04C29348
	v_max3_f32 v48, v74, v75, v48                              // 000000024E30: D1D30030 04C2974A
	v_max3_f32 v48, v76, v77, v48                              // 000000024E38: D1D30030 04C29B4C
	v_max3_f32 v48, v78, v79, v48                              // 000000024E40: D1D30030 04C29F4E
	v_mov_b32_e32 v64, 0xff800000                              // 000000024E48: 7E8002FF FF800000
	v_cmp_eq_u32_e64 s[40:41], v64, v14                        // 000000024E50: D0CA0028 00021D40
	s_nop 1                                                    // 000000024E58: BF800001
	v_max_f32_e32 v15, v48, v14                                // 000000024E5C: 161E1D30
	v_mul_f32_e32 v53, s64, v15                                // 000000024E60: 0A6A1E40
	v_fma_f32 v160, v160, s64, -v53                            // 000000024E64: D1CB00A0 84D481A0
	v_fma_f32 v161, v161, s64, -v53                            // 000000024E6C: D1CB00A1 84D481A1
	v_fma_f32 v162, v162, s64, -v53                            // 000000024E74: D1CB00A2 84D481A2
	v_fma_f32 v163, v163, s64, -v53                            // 000000024E7C: D1CB00A3 84D481A3
	v_fma_f32 v164, v164, s64, -v53                            // 000000024E84: D1CB00A4 84D481A4
	v_fma_f32 v165, v165, s64, -v53                            // 000000024E8C: D1CB00A5 84D481A5
	v_fma_f32 v166, v166, s64, -v53                            // 000000024E94: D1CB00A6 84D481A6
	v_fma_f32 v167, v167, s64, -v53                            // 000000024E9C: D1CB00A7 84D481A7
	v_fma_f32 v168, v168, s64, -v53                            // 000000024EA4: D1CB00A8 84D481A8
	v_fma_f32 v169, v169, s64, -v53                            // 000000024EAC: D1CB00A9 84D481A9
	v_fma_f32 v170, v170, s64, -v53                            // 000000024EB4: D1CB00AA 84D481AA
	v_fma_f32 v171, v171, s64, -v53                            // 000000024EBC: D1CB00AB 84D481AB
	v_fma_f32 v172, v172, s64, -v53                            // 000000024EC4: D1CB00AC 84D481AC
	v_fma_f32 v173, v173, s64, -v53                            // 000000024ECC: D1CB00AD 84D481AD
	v_fma_f32 v174, v174, s64, -v53                            // 000000024ED4: D1CB00AE 84D481AE
	v_fma_f32 v175, v175, s64, -v53                            // 000000024EDC: D1CB00AF 84D481AF
	v_exp_f32_e32 v160, v160                                   // 000000024EE4: 7F4041A0
	v_exp_f32_e32 v161, v161                                   // 000000024EE8: 7F4241A1
	v_exp_f32_e32 v162, v162                                   // 000000024EEC: 7F4441A2
	v_exp_f32_e32 v163, v163                                   // 000000024EF0: 7F4641A3
	v_exp_f32_e32 v164, v164                                   // 000000024EF4: 7F4841A4
	v_exp_f32_e32 v165, v165                                   // 000000024EF8: 7F4A41A5
	v_exp_f32_e32 v166, v166                                   // 000000024EFC: 7F4C41A6
	v_exp_f32_e32 v167, v167                                   // 000000024F00: 7F4E41A7
	v_exp_f32_e32 v168, v168                                   // 000000024F04: 7F5041A8
	v_exp_f32_e32 v169, v169                                   // 000000024F08: 7F5241A9
	v_exp_f32_e32 v170, v170                                   // 000000024F0C: 7F5441AA
	v_exp_f32_e32 v171, v171                                   // 000000024F10: 7F5641AB
	v_exp_f32_e32 v172, v172                                   // 000000024F14: 7F5841AC
	v_exp_f32_e32 v173, v173                                   // 000000024F18: 7F5A41AD
	v_exp_f32_e32 v174, v174                                   // 000000024F1C: 7F5C41AE
	v_exp_f32_e32 v175, v175                                   // 000000024F20: 7F5E41AF
	v_mul_f32_dpp v240, v252, v160 quad_perm:[0,0,0,0] row_mask:0xf bank_mask:0xf// 000000024F24: 0BE140FA FF0000FC
	v_mul_f32_dpp v241, v252, v161 quad_perm:[1,1,1,1] row_mask:0xf bank_mask:0xf// 000000024F2C: 0BE342FA FF0055FC
	v_mul_f32_dpp v242, v252, v162 quad_perm:[2,2,2,2] row_mask:0xf bank_mask:0xf// 000000024F34: 0BE544FA FF00AAFC
	v_mul_f32_dpp v243, v252, v163 quad_perm:[3,3,3,3] row_mask:0xf bank_mask:0xf// 000000024F3C: 0BE746FA FF00FFFC
	v_mul_f32_dpp v244, v253, v164 quad_perm:[0,0,0,0] row_mask:0xf bank_mask:0xf// 000000024F44: 0BE948FA FF0000FD
	v_mul_f32_dpp v245, v253, v165 quad_perm:[1,1,1,1] row_mask:0xf bank_mask:0xf// 000000024F4C: 0BEB4AFA FF0055FD
	v_mul_f32_dpp v246, v253, v166 quad_perm:[2,2,2,2] row_mask:0xf bank_mask:0xf// 000000024F54: 0BED4CFA FF00AAFD
	v_mul_f32_dpp v247, v253, v167 quad_perm:[3,3,3,3] row_mask:0xf bank_mask:0xf// 000000024F5C: 0BEF4EFA FF00FFFD
	v_mul_f32_dpp v248, v254, v168 quad_perm:[0,0,0,0] row_mask:0xf bank_mask:0xf// 000000024F64: 0BF150FA FF0000FE
	v_mul_f32_dpp v249, v254, v169 quad_perm:[1,1,1,1] row_mask:0xf bank_mask:0xf// 000000024F6C: 0BF352FA FF0055FE
	v_mul_f32_dpp v250, v254, v170 quad_perm:[2,2,2,2] row_mask:0xf bank_mask:0xf// 000000024F74: 0BF554FA FF00AAFE
	v_mul_f32_dpp v251, v254, v171 quad_perm:[3,3,3,3] row_mask:0xf bank_mask:0xf// 000000024F7C: 0BF756FA FF00FFFE
	v_mul_f32_dpp v252, v255, v172 quad_perm:[0,0,0,0] row_mask:0xf bank_mask:0xf// 000000024F84: 0BF958FA FF0000FF
	v_mul_f32_dpp v253, v255, v173 quad_perm:[1,1,1,1] row_mask:0xf bank_mask:0xf// 000000024F8C: 0BFB5AFA FF0055FF
	v_mul_f32_dpp v254, v255, v174 quad_perm:[2,2,2,2] row_mask:0xf bank_mask:0xf// 000000024F94: 0BFD5CFA FF00AAFF
	v_mul_f32_dpp v255, v255, v175 quad_perm:[3,3,3,3] row_mask:0xf bank_mask:0xf// 000000024F9C: 0BFF5EFA FF00FFFF
	v_mov_b32_e32 v48, 0x358637bd                              // 000000024FA4: 7E6002FF 358637BD
	v_max3_f32 v48, |v240|, |v241|, v48                        // 000000024FAC: D1D30330 04C3E3F0
	v_max3_f32 v48, |v242|, |v243|, v48                        // 000000024FB4: D1D30330 04C3E7F2
	v_max3_f32 v48, |v244|, |v245|, v48                        // 000000024FBC: D1D30330 04C3EBF4
	v_max3_f32 v48, |v246|, |v247|, v48                        // 000000024FC4: D1D30330 04C3EFF6
	v_max3_f32 v48, |v248|, |v249|, v48                        // 000000024FCC: D1D30330 04C3F3F8
	v_max3_f32 v48, |v250|, |v251|, v48                        // 000000024FD4: D1D30330 04C3F7FA
	v_max3_f32 v48, |v252|, |v253|, v48                        // 000000024FDC: D1D30330 04C3FBFC
	v_max3_f32 v48, |v254|, |v255|, v48                        // 000000024FE4: D1D30330 04C3FFFE
	ds_write_b32 v8, v48 offset:20992                          // 000000024FEC: D81A5200 00003008
	v_sub_f32_e32 v52, v14, v15                                // 000000024FF4: 04681F0E
	v_cndmask_b32_e64 v52, v52, 0, s[40:41]                    // 000000024FF8: D1000034 00A10134
	v_mov_b32_e32 v14, v15                                     // 000000025000: 7E1C030F
	v_mul_f32_e32 v52, s64, v52                                // 000000025004: 0A686840
	v_exp_f32_e32 v52, v52                                     // 000000025008: 7E684134
	s_waitcnt lgkmcnt(0)                                       // 00000002500C: BF8CC07F
	s_barrier                                                  // 000000025010: BF8A0000
	ds_read_b32 v64, v7 offset:20992                           // 000000025014: D86C5200 40000007
	ds_read_b32 v65, v7 offset:21056                           // 00000002501C: D86C5240 41000007
	ds_read_b32 v66, v7 offset:21120                           // 000000025024: D86C5280 42000007
	ds_read_b32 v67, v7 offset:21184                           // 00000002502C: D86C52C0 43000007
	ds_read_b32 v68, v7 offset:21248                           // 000000025034: D86C5300 44000007
	ds_read_b32 v69, v7 offset:21312                           // 00000002503C: D86C5340 45000007
	ds_read_b32 v70, v7 offset:21376                           // 000000025044: D86C5380 46000007
	ds_read_b32 v71, v7 offset:21440                           // 00000002504C: D86C53C0 47000007
	ds_read_b32 v72, v7 offset:21504                           // 000000025054: D86C5400 48000007
	ds_read_b32 v73, v7 offset:21568                           // 00000002505C: D86C5440 49000007
	ds_read_b32 v74, v7 offset:21632                           // 000000025064: D86C5480 4A000007
	ds_read_b32 v75, v7 offset:21696                           // 00000002506C: D86C54C0 4B000007
	ds_read_b32 v76, v7 offset:21760                           // 000000025074: D86C5500 4C000007
	ds_read_b32 v77, v7 offset:21824                           // 00000002507C: D86C5540 4D000007
	ds_read_b32 v78, v7 offset:21888                           // 000000025084: D86C5580 4E000007
	ds_read_b32 v79, v7 offset:21952                           // 00000002508C: D86C55C0 4F000007
	v_mul_f32_e32 v41, v52, v41                                // 000000025094: 0A525334
	v_mov_b32_e32 v15, v160                                    // 000000025098: 7E1E03A0
	v_add_f32_e32 v15, v161, v15                               // 00000002509C: 021E1FA1
	v_add_f32_e32 v15, v162, v15                               // 0000000250A0: 021E1FA2
	v_add_f32_e32 v15, v163, v15                               // 0000000250A4: 021E1FA3
	v_add_f32_e32 v15, v164, v15                               // 0000000250A8: 021E1FA4
	v_add_f32_e32 v15, v165, v15                               // 0000000250AC: 021E1FA5
	v_add_f32_e32 v15, v166, v15                               // 0000000250B0: 021E1FA6
	v_add_f32_e32 v15, v167, v15                               // 0000000250B4: 021E1FA7
	v_add_f32_e32 v15, v168, v15                               // 0000000250B8: 021E1FA8
	v_add_f32_e32 v15, v169, v15                               // 0000000250BC: 021E1FA9
	v_add_f32_e32 v15, v170, v15                               // 0000000250C0: 021E1FAA
	v_add_f32_e32 v15, v171, v15                               // 0000000250C4: 021E1FAB
	v_add_f32_e32 v15, v172, v15                               // 0000000250C8: 021E1FAC
	v_add_f32_e32 v15, v173, v15                               // 0000000250CC: 021E1FAD
	v_add_f32_e32 v15, v174, v15                               // 0000000250D0: 021E1FAE
	v_add_f32_e32 v15, v175, v15                               // 0000000250D4: 021E1FAF
	v_add_f32_e32 v41, v15, v41                                // 0000000250D8: 0252530F
	s_waitcnt lgkmcnt(0)                                       // 0000000250DC: BF8CC07F
	v_max3_f32 v48, |v64|, |v65|, v48                          // 0000000250E0: D1D30330 04C28340
	v_max3_f32 v48, |v66|, |v67|, v48                          // 0000000250E8: D1D30330 04C28742
	v_max3_f32 v48, |v68|, |v69|, v48                          // 0000000250F0: D1D30330 04C28B44
	v_max3_f32 v48, |v70|, |v71|, v48                          // 0000000250F8: D1D30330 04C28F46
	v_max3_f32 v48, |v72|, |v73|, v48                          // 000000025100: D1D30330 04C29348
	v_max3_f32 v48, |v74|, |v75|, v48                          // 000000025108: D1D30330 04C2974A
	v_max3_f32 v48, |v76|, |v77|, v48                          // 000000025110: D1D30330 04C29B4C
	v_max3_f32 v48, |v78|, |v79|, v48                          // 000000025118: D1D30330 04C29F4E
	s_nop 2                                                    // 000000025120: BF800002
	v_rcp_f32_e32 v48, v48                                     // 000000025124: 7E604530
	s_nop 1                                                    // 000000025128: BF800001
	v_mul_f32_e32 v48, 0x43700000, v48                         // 00000002512C: 0A6060FF 43700000
	v_mul_f32_e32 v160, v48, v240                              // 000000025134: 0B41E130
	v_mul_f32_e32 v161, v48, v241                              // 000000025138: 0B43E330
	v_mul_f32_e32 v162, v48, v242                              // 00000002513C: 0B45E530
	v_mul_f32_e32 v163, v48, v243                              // 000000025140: 0B47E730
	v_mul_f32_e32 v164, v48, v244                              // 000000025144: 0B49E930
	v_mul_f32_e32 v165, v48, v245                              // 000000025148: 0B4BEB30
	v_mul_f32_e32 v166, v48, v246                              // 00000002514C: 0B4DED30
	v_mul_f32_e32 v167, v48, v247                              // 000000025150: 0B4FEF30
	v_mul_f32_e32 v168, v48, v248                              // 000000025154: 0B51F130
	v_mul_f32_e32 v169, v48, v249                              // 000000025158: 0B53F330
	v_mul_f32_e32 v170, v48, v250                              // 00000002515C: 0B55F530
	v_mul_f32_e32 v171, v48, v251                              // 000000025160: 0B57F730
	v_mul_f32_e32 v172, v48, v252                              // 000000025164: 0B59F930
	v_mul_f32_e32 v173, v48, v253                              // 000000025168: 0B5BFB30
	v_mul_f32_e32 v174, v48, v254                              // 00000002516C: 0B5DFD30
	v_mul_f32_e32 v175, v48, v255                              // 000000025170: 0B5FFF30
	v_cvt_pk_fp8_f32 v160, v160, v161                          // 000000025174: D2A200A0 000343A0
	v_cvt_pk_fp8_f32 v160, v162, v163 op_sel:[0,0,1]           // 00000002517C: D2A240A0 000347A2
	v_cvt_pk_fp8_f32 v161, v164, v165                          // 000000025184: D2A200A1 00034BA4
	v_cvt_pk_fp8_f32 v161, v166, v167 op_sel:[0,0,1]           // 00000002518C: D2A240A1 00034FA6
	v_cvt_pk_fp8_f32 v162, v168, v169                          // 000000025194: D2A200A2 000353A8
	v_cvt_pk_fp8_f32 v162, v170, v171 op_sel:[0,0,1]           // 00000002519C: D2A240A2 000357AA
	v_cvt_pk_fp8_f32 v163, v172, v173                          // 0000000251A4: D2A200A3 00035BAC
	v_cvt_pk_fp8_f32 v163, v174, v175 op_sel:[0,0,1]           // 0000000251AC: D2A240A3 00035FAE
	ds_write_b32 v10, v160 offset:37376                        // 0000000251B4: D81A9200 0000A00A
	ds_write_b32 v10, v161 offset:38400                        // 0000000251BC: D81A9600 0000A10A
	ds_write_b32 v10, v162 offset:39424                        // 0000000251C4: D81A9A00 0000A20A
	ds_write_b32 v10, v163 offset:40448                        // 0000000251CC: D81A9E00 0000A30A
	v_add_f32_e32 v232, v232, v200                             // 0000000251D4: 03D191E8
	v_add_f32_e32 v233, v233, v201                             // 0000000251D8: 03D393E9
	v_add_f32_e32 v234, v234, v202                             // 0000000251DC: 03D595EA
	v_add_f32_e32 v235, v235, v203                             // 0000000251E0: 03D797EB
	v_add_f32_e32 v236, v236, v204                             // 0000000251E4: 03D999EC
	v_add_f32_e32 v237, v237, v205                             // 0000000251E8: 03DB9BED
	v_add_f32_e32 v238, v238, v206                             // 0000000251EC: 03DD9DEE
	v_add_f32_e32 v239, v239, v207                             // 0000000251F0: 03DF9FEF
	v_rcp_f32_e32 v47, v48                                     // 0000000251F4: 7E5E4530
	s_waitcnt lgkmcnt(0)                                       // 0000000251F8: BF8CC07F
	s_barrier                                                  // 0000000251FC: BF8A0000
	ds_read_b64 v[160:161], v9 offset:37376                    // 000000025200: D8EC9200 A0000009
	ds_read_b64 v[162:163], v9 offset:37504                    // 000000025208: D8EC9280 A2000009
	ds_read_b64 v[164:165], v9 offset:38400                    // 000000025210: D8EC9600 A4000009
	ds_read_b64 v[166:167], v9 offset:38528                    // 000000025218: D8EC9680 A6000009
	ds_read_b64 v[168:169], v9 offset:39424                    // 000000025220: D8EC9A00 A8000009
	ds_read_b64 v[170:171], v9 offset:39552                    // 000000025228: D8EC9A80 AA000009
	ds_read_b64 v[172:173], v9 offset:40448                    // 000000025230: D8EC9E00 AC000009
	ds_read_b64 v[174:175], v9 offset:40576                    // 000000025238: D8EC9E80 AE000009
	s_waitcnt vmcnt(15)                                        // 000000025240: BF8C0F7F
	v_mfma_f32_16x16x32_fp8_fp8 v[176:179], a[64:65], v[112:113], 0// 000000025244: D3F300B0 0A02E140
	buffer_load_dwordx4 a[112:115], v34, s[20:23], 0 offen offset:1024// 00000002524C: E05C1400 80857022
	v_mfma_f32_16x16x32_fp8_fp8 v[176:179], a[66:67], v[114:115], v[176:179]// 000000025254: D3F300B0 0EC2E542
	v_mfma_f32_16x16x32_fp8_fp8 v[176:179], a[68:69], v[116:117], v[176:179]// 00000002525C: D3F300B0 0EC2E944
	v_mfma_f32_16x16x32_fp8_fp8 v[176:179], a[70:71], v[118:119], v[176:179]// 000000025264: D3F300B0 0EC2ED46
	v_mfma_f32_16x16x32_fp8_fp8 v[176:179], a[72:73], v[120:121], v[176:179]// 00000002526C: D3F300B0 0EC2F148
	buffer_load_dwordx4 a[116:119], v35, s[20:23], 0 offen offset:1024// 000000025274: E05C1400 80857423
	v_mfma_f32_16x16x32_fp8_fp8 v[176:179], a[74:75], v[122:123], v[176:179]// 00000002527C: D3F300B0 0EC2F54A
	v_mfma_f32_16x16x32_fp8_fp8 v[176:179], a[76:77], v[124:125], v[176:179]// 000000025284: D3F300B0 0EC2F94C
	v_mfma_f32_16x16x32_fp8_fp8 v[176:179], a[78:79], v[126:127], v[176:179]// 00000002528C: D3F300B0 0EC2FD4E
	v_mfma_f32_16x16x32_fp8_fp8 v[180:183], a[80:81], v[112:113], 0// 000000025294: D3F300B4 0A02E150
	buffer_load_dwordx4 a[120:123], v36, s[20:23], 0 offen offset:1024// 00000002529C: E05C1400 80857824
	v_mfma_f32_16x16x32_fp8_fp8 v[180:183], a[82:83], v[114:115], v[180:183]// 0000000252A4: D3F300B4 0ED2E552
	v_mfma_f32_16x16x32_fp8_fp8 v[180:183], a[84:85], v[116:117], v[180:183]// 0000000252AC: D3F300B4 0ED2E954
	v_mfma_f32_16x16x32_fp8_fp8 v[180:183], a[86:87], v[118:119], v[180:183]// 0000000252B4: D3F300B4 0ED2ED56
	v_mfma_f32_16x16x32_fp8_fp8 v[180:183], a[88:89], v[120:121], v[180:183]// 0000000252BC: D3F300B4 0ED2F158
	buffer_load_dwordx4 a[124:127], v37, s[20:23], 0 offen offset:1024// 0000000252C4: E05C1400 80857C25
	v_mfma_f32_16x16x32_fp8_fp8 v[180:183], a[90:91], v[122:123], v[180:183]// 0000000252CC: D3F300B4 0ED2F55A
	v_mfma_f32_16x16x32_fp8_fp8 v[180:183], a[92:93], v[124:125], v[180:183]// 0000000252D4: D3F300B4 0ED2F95C
	s_lshr_b32 s57, s70, 4                                     // 0000000252DC: 8F398446
	s_add_u32 s57, 48, s57                                     // 0000000252E0: 803939B0
	v_mfma_f32_16x16x32_fp8_fp8 v[180:183], a[94:95], v[126:127], v[180:183]// 0000000252E4: D3F300B4 0ED2FD5E
	s_cmp_ge_u32 s57, s73                                      // 0000000252EC: BF094939
	s_cselect_b32 s56, 0, s56                                  // 0000000252F0: 85383880
	v_mfma_f32_16x16x32_fp8_fp8 v[184:187], a[64:65], v[128:129], 0// 0000000252F4: D3F300B8 0A030140
	v_mfma_f32_16x16x32_fp8_fp8 v[184:187], a[66:67], v[130:131], v[184:187]// 0000000252FC: D3F300B8 0EE30542
	v_mfma_f32_16x16x32_fp8_fp8 v[184:187], a[68:69], v[132:133], v[184:187]// 000000025304: D3F300B8 0EE30944
	v_mfma_f32_16x16x32_fp8_fp8 v[184:187], a[70:71], v[134:135], v[184:187]// 00000002530C: D3F300B8 0EE30D46
	v_mfma_f32_16x16x32_fp8_fp8 v[184:187], a[72:73], v[136:137], v[184:187]// 000000025314: D3F300B8 0EE31148
	v_mfma_f32_16x16x32_fp8_fp8 v[184:187], a[74:75], v[138:139], v[184:187]// 00000002531C: D3F300B8 0EE3154A
	v_mfma_f32_16x16x32_fp8_fp8 v[184:187], a[76:77], v[140:141], v[184:187]// 000000025324: D3F300B8 0EE3194C
	v_mfma_f32_16x16x32_fp8_fp8 v[184:187], a[78:79], v[142:143], v[184:187]// 00000002532C: D3F300B8 0EE31D4E
	v_mfma_f32_16x16x32_fp8_fp8 v[188:191], a[80:81], v[128:129], 0// 000000025334: D3F300BC 0A030150
	v_mfma_f32_16x16x32_fp8_fp8 v[188:191], a[82:83], v[130:131], v[188:191]// 00000002533C: D3F300BC 0EF30552
	v_mfma_f32_16x16x32_fp8_fp8 v[188:191], a[84:85], v[132:133], v[188:191]// 000000025344: D3F300BC 0EF30954
	v_mfma_f32_16x16x32_fp8_fp8 v[188:191], a[86:87], v[134:135], v[188:191]// 00000002534C: D3F300BC 0EF30D56
	v_mfma_f32_16x16x32_fp8_fp8 v[188:191], a[88:89], v[136:137], v[188:191]// 000000025354: D3F300BC 0EF31158
	v_mfma_f32_16x16x32_fp8_fp8 v[188:191], a[90:91], v[138:139], v[188:191]// 00000002535C: D3F300BC 0EF3155A
	v_mfma_f32_16x16x32_fp8_fp8 v[188:191], a[92:93], v[140:141], v[188:191]// 000000025364: D3F300BC 0EF3195C
	v_mfma_f32_16x16x32_fp8_fp8 v[188:191], a[94:95], v[142:143], v[188:191]// 00000002536C: D3F300BC 0EF31D5E
	v_mfma_f32_16x16x32_fp8_fp8 v[192:195], a[64:65], v[144:145], 0// 000000025374: D3F300C0 0A032140
	v_mfma_f32_16x16x32_fp8_fp8 v[192:195], a[66:67], v[146:147], v[192:195]// 00000002537C: D3F300C0 0F032542
	v_mfma_f32_16x16x32_fp8_fp8 v[192:195], a[68:69], v[148:149], v[192:195]// 000000025384: D3F300C0 0F032944
	v_mfma_f32_16x16x32_fp8_fp8 v[192:195], a[70:71], v[150:151], v[192:195]// 00000002538C: D3F300C0 0F032D46
	v_mfma_f32_16x16x32_fp8_fp8 v[192:195], a[72:73], v[152:153], v[192:195]// 000000025394: D3F300C0 0F033148
	v_mfma_f32_16x16x32_fp8_fp8 v[192:195], a[74:75], v[154:155], v[192:195]// 00000002539C: D3F300C0 0F03354A
	v_mfma_f32_16x16x32_fp8_fp8 v[192:195], a[76:77], v[156:157], v[192:195]// 0000000253A4: D3F300C0 0F03394C
	v_mfma_f32_16x16x32_fp8_fp8 v[192:195], a[78:79], v[158:159], v[192:195]// 0000000253AC: D3F300C0 0F033D4E
	v_mfma_f32_16x16x32_fp8_fp8 v[196:199], a[80:81], v[144:145], 0// 0000000253B4: D3F300C4 0A032150
	v_mfma_f32_16x16x32_fp8_fp8 v[196:199], a[82:83], v[146:147], v[196:199]// 0000000253BC: D3F300C4 0F132552
	v_mfma_f32_16x16x32_fp8_fp8 v[196:199], a[84:85], v[148:149], v[196:199]// 0000000253C4: D3F300C4 0F132954
	v_mfma_f32_16x16x32_fp8_fp8 v[196:199], a[86:87], v[150:151], v[196:199]// 0000000253CC: D3F300C4 0F132D56
	v_mfma_f32_16x16x32_fp8_fp8 v[196:199], a[88:89], v[152:153], v[196:199]// 0000000253D4: D3F300C4 0F133158
	v_mfma_f32_16x16x32_fp8_fp8 v[196:199], a[90:91], v[154:155], v[196:199]// 0000000253DC: D3F300C4 0F13355A
	v_mfma_f32_16x16x32_fp8_fp8 v[196:199], a[92:93], v[156:157], v[196:199]// 0000000253E4: D3F300C4 0F13395C
	v_mfma_f32_16x16x32_fp8_fp8 v[196:199], a[94:95], v[158:159], v[196:199]// 0000000253EC: D3F300C4 0F133D5E
	v_mfma_f32_16x16x32_fp8_fp8 v[200:203], a[64:65], v[160:161], 0// 0000000253F4: D3F300C8 0A034140
	v_mfma_f32_16x16x32_fp8_fp8 v[200:203], a[66:67], v[162:163], v[200:203]// 0000000253FC: D3F300C8 0F234542
	v_mfma_f32_16x16x32_fp8_fp8 v[200:203], a[68:69], v[164:165], v[200:203]// 000000025404: D3F300C8 0F234944
	v_mfma_f32_16x16x32_fp8_fp8 v[200:203], a[70:71], v[166:167], v[200:203]// 00000002540C: D3F300C8 0F234D46
	v_mfma_f32_16x16x32_fp8_fp8 v[200:203], a[72:73], v[168:169], v[200:203]// 000000025414: D3F300C8 0F235148
	v_mfma_f32_16x16x32_fp8_fp8 v[200:203], a[74:75], v[170:171], v[200:203]// 00000002541C: D3F300C8 0F23554A
	v_mfma_f32_16x16x32_fp8_fp8 v[200:203], a[76:77], v[172:173], v[200:203]// 000000025424: D3F300C8 0F23594C
	v_mfma_f32_16x16x32_fp8_fp8 v[200:203], a[78:79], v[174:175], v[200:203]// 00000002542C: D3F300C8 0F235D4E
	v_mfma_f32_16x16x32_fp8_fp8 v[204:207], a[80:81], v[160:161], 0// 000000025434: D3F300CC 0A034150
	v_mfma_f32_16x16x32_fp8_fp8 v[204:207], a[82:83], v[162:163], v[204:207]// 00000002543C: D3F300CC 0F334552
	v_mfma_f32_16x16x32_fp8_fp8 v[204:207], a[84:85], v[164:165], v[204:207]// 000000025444: D3F300CC 0F334954
	v_mfma_f32_16x16x32_fp8_fp8 v[204:207], a[86:87], v[166:167], v[204:207]// 00000002544C: D3F300CC 0F334D56
	v_mfma_f32_16x16x32_fp8_fp8 v[204:207], a[88:89], v[168:169], v[204:207]// 000000025454: D3F300CC 0F335158
	v_mfma_f32_16x16x32_fp8_fp8 v[204:207], a[90:91], v[170:171], v[204:207]// 00000002545C: D3F300CC 0F33555A
	v_mfma_f32_16x16x32_fp8_fp8 v[204:207], a[92:93], v[172:173], v[204:207]// 000000025464: D3F300CC 0F33595C
	v_mfma_f32_16x16x32_fp8_fp8 v[204:207], a[94:95], v[174:175], v[204:207]// 00000002546C: D3F300CC 0F335D5E
	v_add_u32_e32 v1, s56, v1                                  // 000000025474: 68020238
	s_addk_i32 s70, 0x100                                      // 000000025478: B7460100
	s_cmp_lt_i32 s70, s71                                      // 00000002547C: BF044746
	s_cbranch_scc0 label_82A3                                  // 000000025480: BF84F602
	s_waitcnt vmcnt(8) lgkmcnt(0)                              // 000000025484: BF8C0078
	v_mul_u32_u24_dpp v64, v16, v54 row_newbcast:0 row_mask:0xf bank_mask:0xf// 000000025488: 10806CFA FF015010
	v_mul_u32_u24_dpp v65, v16, v54 row_newbcast:4 row_mask:0xf bank_mask:0xf// 000000025490: 10826CFA FF015410
	v_mul_u32_u24_dpp v66, v16, v54 row_newbcast:8 row_mask:0xf bank_mask:0xf// 000000025498: 10846CFA FF015810
	v_mul_u32_u24_dpp v67, v16, v54 row_newbcast:12 row_mask:0xf bank_mask:0xf// 0000000254A0: 10866CFA FF015C10
	v_add_u32_e32 v22, v64, v5                                 // 0000000254A8: 682C0B40
	v_add_u32_e32 v23, v65, v5                                 // 0000000254AC: 682E0B41
	v_add_u32_e32 v24, v66, v5                                 // 0000000254B0: 68300B42
	v_add_u32_e32 v25, v67, v5                                 // 0000000254B4: 68320B43
	v_mul_u32_u24_dpp v64, v16, v63 quad_perm:[0,0,0,0] row_mask:0xf bank_mask:0xf// 0000000254B8: 10807EFA FF000010
	v_add_u32_e32 v2, v64, v59                                 // 0000000254C0: 68047740
	v_mul_u32_u24_dpp v64, v16, v63 quad_perm:[0,0,0,0] row_mask:0xf bank_mask:0xf// 0000000254C4: 10807EFA FF000010
	v_add_u32_e32 v55, v64, v60                                // 0000000254CC: 686E7940
	v_mfma_f32_16x16x32_fp8_fp8 v[112:115], a[32:33], v[80:81], 0// 0000000254D0: D3F30070 0A02A120
	buffer_load_dwordx4 a[0:3], v22, s[16:19], 0 offen         // 0000000254D8: E05C1000 80840016
	v_mfma_f32_16x16x32_fp8_fp8 v[112:115], a[34:35], v[82:83], v[112:115]// 0000000254E0: D3F30070 0DC2A522
	v_mfma_f32_16x16x32_fp8_fp8 v[112:115], a[36:37], v[84:85], v[112:115]// 0000000254E8: D3F30070 0DC2A924
	buffer_load_dword v17, v1, s[24:27], 0 offen               // 0000000254F0: E0501000 80061101
	v_mfma_f32_16x16x32_fp8_fp8 v[112:115], a[38:39], v[86:87], v[112:115]// 0000000254F8: D3F30070 0DC2AD26
	v_mfma_f32_16x16x32_fp8_fp8 v[116:119], a[40:41], v[80:81], 0// 000000025500: D3F30074 0A02A128
	buffer_load_dwordx4 a[4:7], v22, s[16:19], 0 offen offset:1024// 000000025508: E05C1400 80840416
	v_mfma_f32_16x16x32_fp8_fp8 v[116:119], a[42:43], v[82:83], v[116:119]// 000000025510: D3F30074 0DD2A52A
	v_mfma_f32_16x16x32_fp8_fp8 v[116:119], a[44:45], v[84:85], v[116:119]// 000000025518: D3F30074 0DD2A92C
	v_mfma_f32_16x16x32_fp8_fp8 v[116:119], a[46:47], v[86:87], v[116:119]// 000000025520: D3F30074 0DD2AD2E
	v_mfma_f32_16x16x32_fp8_fp8 v[120:123], a[48:49], v[80:81], 0// 000000025528: D3F30078 0A02A130
	buffer_load_dwordx4 a[8:11], v23, s[16:19], 0 offen        // 000000025530: E05C1000 80840817
	v_mfma_f32_16x16x32_fp8_fp8 v[120:123], a[50:51], v[82:83], v[120:123]// 000000025538: D3F30078 0DE2A532
	v_mfma_f32_16x16x32_fp8_fp8 v[120:123], a[52:53], v[84:85], v[120:123]// 000000025540: D3F30078 0DE2A934
	v_mfma_f32_16x16x32_fp8_fp8 v[120:123], a[54:55], v[86:87], v[120:123]// 000000025548: D3F30078 0DE2AD36
	v_mfma_f32_16x16x32_fp8_fp8 v[124:127], a[56:57], v[80:81], 0// 000000025550: D3F3007C 0A02A138
	buffer_load_dwordx4 a[12:15], v23, s[16:19], 0 offen offset:1024// 000000025558: E05C1400 80840C17
	v_mfma_f32_16x16x32_fp8_fp8 v[124:127], a[58:59], v[82:83], v[124:127]// 000000025560: D3F3007C 0DF2A53A
	v_mfma_f32_16x16x32_fp8_fp8 v[124:127], a[60:61], v[84:85], v[124:127]// 000000025568: D3F3007C 0DF2A93C
	v_mfma_f32_16x16x32_fp8_fp8 v[124:127], a[62:63], v[86:87], v[124:127]// 000000025570: D3F3007C 0DF2AD3E
	v_mfma_f32_16x16x32_fp8_fp8 v[128:131], a[32:33], v[88:89], 0// 000000025578: D3F30080 0A02B120
	v_mfma_f32_16x16x32_fp8_fp8 v[128:131], a[34:35], v[90:91], v[128:131]// 000000025580: D3F30080 0E02B522
	v_mfma_f32_16x16x32_fp8_fp8 v[128:131], a[36:37], v[92:93], v[128:131]// 000000025588: D3F30080 0E02B924
	v_mfma_f32_16x16x32_fp8_fp8 v[128:131], a[38:39], v[94:95], v[128:131]// 000000025590: D3F30080 0E02BD26
	v_mfma_f32_16x16x32_fp8_fp8 v[132:135], a[40:41], v[88:89], 0// 000000025598: D3F30084 0A02B128
	v_mfma_f32_16x16x32_fp8_fp8 v[132:135], a[42:43], v[90:91], v[132:135]// 0000000255A0: D3F30084 0E12B52A
	v_mfma_f32_16x16x32_fp8_fp8 v[132:135], a[44:45], v[92:93], v[132:135]// 0000000255A8: D3F30084 0E12B92C
	v_mfma_f32_16x16x32_fp8_fp8 v[132:135], a[46:47], v[94:95], v[132:135]// 0000000255B0: D3F30084 0E12BD2E
	v_mfma_f32_16x16x32_fp8_fp8 v[136:139], a[48:49], v[88:89], 0// 0000000255B8: D3F30088 0A02B130
	v_mfma_f32_16x16x32_fp8_fp8 v[136:139], a[50:51], v[90:91], v[136:139]// 0000000255C0: D3F30088 0E22B532
	v_mfma_f32_16x16x32_fp8_fp8 v[136:139], a[52:53], v[92:93], v[136:139]// 0000000255C8: D3F30088 0E22B934
	v_mfma_f32_16x16x32_fp8_fp8 v[136:139], a[54:55], v[94:95], v[136:139]// 0000000255D0: D3F30088 0E22BD36
	v_mfma_f32_16x16x32_fp8_fp8 v[140:143], a[56:57], v[88:89], 0// 0000000255D8: D3F3008C 0A02B138
	v_mfma_f32_16x16x32_fp8_fp8 v[140:143], a[58:59], v[90:91], v[140:143]// 0000000255E0: D3F3008C 0E32B53A
	v_mfma_f32_16x16x32_fp8_fp8 v[140:143], a[60:61], v[92:93], v[140:143]// 0000000255E8: D3F3008C 0E32B93C
	v_mfma_f32_16x16x32_fp8_fp8 v[140:143], a[62:63], v[94:95], v[140:143]// 0000000255F0: D3F3008C 0E32BD3E
	v_mfma_f32_16x16x32_fp8_fp8 v[144:147], a[32:33], v[96:97], 0// 0000000255F8: D3F30090 0A02C120
	v_mfma_f32_16x16x32_fp8_fp8 v[144:147], a[34:35], v[98:99], v[144:147]// 000000025600: D3F30090 0E42C522
	v_mfma_f32_16x16x32_fp8_fp8 v[144:147], a[36:37], v[100:101], v[144:147]// 000000025608: D3F30090 0E42C924
	v_mfma_f32_16x16x32_fp8_fp8 v[144:147], a[38:39], v[102:103], v[144:147]// 000000025610: D3F30090 0E42CD26
	v_mfma_f32_16x16x32_fp8_fp8 v[148:151], a[40:41], v[96:97], 0// 000000025618: D3F30094 0A02C128
	v_mfma_f32_16x16x32_fp8_fp8 v[148:151], a[42:43], v[98:99], v[148:151]// 000000025620: D3F30094 0E52C52A
	v_mfma_f32_16x16x32_fp8_fp8 v[148:151], a[44:45], v[100:101], v[148:151]// 000000025628: D3F30094 0E52C92C
	v_mfma_f32_16x16x32_fp8_fp8 v[148:151], a[46:47], v[102:103], v[148:151]// 000000025630: D3F30094 0E52CD2E
	v_mfma_f32_16x16x32_fp8_fp8 v[152:155], a[48:49], v[96:97], 0// 000000025638: D3F30098 0A02C130
	v_mfma_f32_16x16x32_fp8_fp8 v[152:155], a[50:51], v[98:99], v[152:155]// 000000025640: D3F30098 0E62C532
	v_mfma_f32_16x16x32_fp8_fp8 v[152:155], a[52:53], v[100:101], v[152:155]// 000000025648: D3F30098 0E62C934
	v_mfma_f32_16x16x32_fp8_fp8 v[152:155], a[54:55], v[102:103], v[152:155]// 000000025650: D3F30098 0E62CD36
	v_mfma_f32_16x16x32_fp8_fp8 v[156:159], a[56:57], v[96:97], 0// 000000025658: D3F3009C 0A02C138
	v_mfma_f32_16x16x32_fp8_fp8 v[156:159], a[58:59], v[98:99], v[156:159]// 000000025660: D3F3009C 0E72C53A
	v_mfma_f32_16x16x32_fp8_fp8 v[156:159], a[60:61], v[100:101], v[156:159]// 000000025668: D3F3009C 0E72C93C
	v_mfma_f32_16x16x32_fp8_fp8 v[156:159], a[62:63], v[102:103], v[156:159]// 000000025670: D3F3009C 0E72CD3E
	v_mfma_f32_16x16x32_fp8_fp8 v[160:163], a[32:33], v[104:105], 0// 000000025678: D3F300A0 0A02D120
	v_mfma_f32_16x16x32_fp8_fp8 v[160:163], a[34:35], v[106:107], v[160:163]// 000000025680: D3F300A0 0E82D522
	v_mfma_f32_16x16x32_fp8_fp8 v[160:163], a[36:37], v[108:109], v[160:163]// 000000025688: D3F300A0 0E82D924
	v_mfma_f32_16x16x32_fp8_fp8 v[160:163], a[38:39], v[110:111], v[160:163]// 000000025690: D3F300A0 0E82DD26
	v_mfma_f32_16x16x32_fp8_fp8 v[164:167], a[40:41], v[104:105], 0// 000000025698: D3F300A4 0A02D128
	v_mfma_f32_16x16x32_fp8_fp8 v[164:167], a[42:43], v[106:107], v[164:167]// 0000000256A0: D3F300A4 0E92D52A
	v_mfma_f32_16x16x32_fp8_fp8 v[164:167], a[44:45], v[108:109], v[164:167]// 0000000256A8: D3F300A4 0E92D92C
	v_mfma_f32_16x16x32_fp8_fp8 v[164:167], a[46:47], v[110:111], v[164:167]// 0000000256B0: D3F300A4 0E92DD2E
	v_mfma_f32_16x16x32_fp8_fp8 v[168:171], a[48:49], v[104:105], 0// 0000000256B8: D3F300A8 0A02D130
	v_mfma_f32_16x16x32_fp8_fp8 v[168:171], a[50:51], v[106:107], v[168:171]// 0000000256C0: D3F300A8 0EA2D532
	v_mfma_f32_16x16x32_fp8_fp8 v[168:171], a[52:53], v[108:109], v[168:171]// 0000000256C8: D3F300A8 0EA2D934
	v_mfma_f32_16x16x32_fp8_fp8 v[168:171], a[54:55], v[110:111], v[168:171]// 0000000256D0: D3F300A8 0EA2DD36
	v_mfma_f32_16x16x32_fp8_fp8 v[172:175], a[56:57], v[104:105], 0// 0000000256D8: D3F300AC 0A02D138
	v_mfma_f32_16x16x32_fp8_fp8 v[172:175], a[58:59], v[106:107], v[172:175]// 0000000256E0: D3F300AC 0EB2D53A
	v_mfma_f32_16x16x32_fp8_fp8 v[172:175], a[60:61], v[108:109], v[172:175]// 0000000256E8: D3F300AC 0EB2D93C
	v_mfma_f32_16x16x32_fp8_fp8 v[172:175], a[62:63], v[110:111], v[172:175]// 0000000256F0: D3F300AC 0EB2DD3E
	buffer_load_dword v42, v2, s[32:35], 0 offen               // 0000000256F8: E0501000 80082A02
	v_mov_b32_dpp v64, v43 row_shr:4 row_mask:0xf bank_mask:0xf// 000000025700: 7E8002FA FF01142B
	v_mov_b32_dpp v65, v43 row_shl:4 row_mask:0xf bank_mask:0xf// 000000025708: 7E8202FA FF01042B
	v_cndmask_b32_e64 v248, v43, v64, s[44:45]                 // 000000025710: D10000F8 00B2812B
	v_cndmask_b32_e64 v249, v65, v43, s[44:45]                 // 000000025718: D10000F9 00B25741
	v_mov_b32_dpp v64, v248 row_shr:8 row_mask:0xf bank_mask:0xf// 000000025720: 7E8002FA FF0118F8
	v_mov_b32_dpp v65, v248 row_shl:8 row_mask:0xf bank_mask:0xf// 000000025728: 7E8202FA FF0108F8
	v_mov_b32_dpp v66, v249 row_shr:8 row_mask:0xf bank_mask:0xf// 000000025730: 7E8402FA FF0118F9
	v_mov_b32_dpp v67, v249 row_shl:8 row_mask:0xf bank_mask:0xf// 000000025738: 7E8602FA FF0108F9
	v_mov_b32_e32 v68, v248                                    // 000000025740: 7E8803F8
	v_mov_b32_e32 v69, v249                                    // 000000025744: 7E8A03F9
	v_cndmask_b32_e64 v248, v68, v64, s[42:43]                 // 000000025748: D10000F8 00AA8144
	v_cndmask_b32_e64 v250, v68, v65, s[78:79]                 // 000000025750: D10000FA 013A8344
	v_cndmask_b32_e64 v249, v69, v66, s[42:43]                 // 000000025758: D10000F9 00AA8545
	v_cndmask_b32_e64 v251, v69, v67, s[78:79]                 // 000000025760: D10000FB 013A8745
	v_mov_b32_dpp v64, v58 row_shr:4 row_mask:0xf bank_mask:0xf// 000000025768: 7E8002FA FF01143A
	v_mov_b32_dpp v65, v58 row_shl:4 row_mask:0xf bank_mask:0xf// 000000025770: 7E8202FA FF01043A
	v_cndmask_b32_e64 v252, v58, v64, s[44:45]                 // 000000025778: D10000FC 00B2813A
	v_cndmask_b32_e64 v253, v65, v58, s[44:45]                 // 000000025780: D10000FD 00B27541
	v_mov_b32_dpp v64, v252 row_shr:8 row_mask:0xf bank_mask:0xf// 000000025788: 7E8002FA FF0118FC
	v_mov_b32_dpp v65, v252 row_shl:8 row_mask:0xf bank_mask:0xf// 000000025790: 7E8202FA FF0108FC
	v_mov_b32_dpp v66, v253 row_shr:8 row_mask:0xf bank_mask:0xf// 000000025798: 7E8402FA FF0118FD
	v_mov_b32_dpp v67, v253 row_shl:8 row_mask:0xf bank_mask:0xf// 0000000257A0: 7E8602FA FF0108FD
	v_mov_b32_e32 v68, v252                                    // 0000000257A8: 7E8803FC
	v_mov_b32_e32 v69, v253                                    // 0000000257AC: 7E8A03FD
	v_cndmask_b32_e64 v252, v68, v64, s[42:43]                 // 0000000257B0: D10000FC 00AA8144
	v_cndmask_b32_e64 v254, v68, v65, s[78:79]                 // 0000000257B8: D10000FE 013A8344
	v_cndmask_b32_e64 v253, v69, v66, s[42:43]                 // 0000000257C0: D10000FD 00AA8545
	v_cndmask_b32_e64 v255, v69, v67, s[78:79]                 // 0000000257C8: D10000FF 013A8745
	buffer_load_dword v57, v55, s[36:39], 0 offen              // 0000000257D0: E0501000 80093937
	v_mul_f32_e32 v112, v18, v112                              // 0000000257D8: 0AE0E112
	v_mul_f32_e32 v113, v18, v113                              // 0000000257DC: 0AE2E312
	v_mul_f32_e32 v114, v18, v114                              // 0000000257E0: 0AE4E512
	v_mul_f32_e32 v115, v18, v115                              // 0000000257E4: 0AE6E712
	v_mul_f32_e32 v116, v18, v116                              // 0000000257E8: 0AE8E912
	v_mul_f32_e32 v117, v18, v117                              // 0000000257EC: 0AEAEB12
	v_mul_f32_e32 v118, v18, v118                              // 0000000257F0: 0AECED12
	v_mul_f32_e32 v119, v18, v119                              // 0000000257F4: 0AEEEF12
	v_mul_f32_e32 v120, v18, v120                              // 0000000257F8: 0AF0F112
	v_mul_f32_e32 v121, v18, v121                              // 0000000257FC: 0AF2F312
	v_mul_f32_e32 v122, v18, v122                              // 000000025800: 0AF4F512
	v_mul_f32_e32 v123, v18, v123                              // 000000025804: 0AF6F712
	v_mul_f32_e32 v124, v18, v124                              // 000000025808: 0AF8F912
	v_mul_f32_e32 v125, v18, v125                              // 00000002580C: 0AFAFB12
	v_mul_f32_e32 v126, v18, v126                              // 000000025810: 0AFCFD12
	v_mul_f32_e32 v127, v18, v127                              // 000000025814: 0AFEFF12
	buffer_load_dwordx4 a[16:19], v24, s[16:19], 0 offen       // 000000025818: E05C1000 80841018
	v_mul_f32_dpp v112, v248, v112 quad_perm:[0,0,0,0] row_mask:0xf bank_mask:0xf// 000000025820: 0AE0E0FA FF0000F8
	v_mul_f32_dpp v113, v248, v113 quad_perm:[1,1,1,1] row_mask:0xf bank_mask:0xf// 000000025828: 0AE2E2FA FF0055F8
	v_mul_f32_dpp v114, v248, v114 quad_perm:[2,2,2,2] row_mask:0xf bank_mask:0xf// 000000025830: 0AE4E4FA FF00AAF8
	v_mul_f32_dpp v115, v248, v115 quad_perm:[3,3,3,3] row_mask:0xf bank_mask:0xf// 000000025838: 0AE6E6FA FF00FFF8
	v_mul_f32_dpp v116, v249, v116 quad_perm:[0,0,0,0] row_mask:0xf bank_mask:0xf// 000000025840: 0AE8E8FA FF0000F9
	v_mul_f32_dpp v117, v249, v117 quad_perm:[1,1,1,1] row_mask:0xf bank_mask:0xf// 000000025848: 0AEAEAFA FF0055F9
	v_mul_f32_dpp v118, v249, v118 quad_perm:[2,2,2,2] row_mask:0xf bank_mask:0xf// 000000025850: 0AECECFA FF00AAF9
	v_mul_f32_dpp v119, v249, v119 quad_perm:[3,3,3,3] row_mask:0xf bank_mask:0xf// 000000025858: 0AEEEEFA FF00FFF9
	v_mul_f32_dpp v120, v250, v120 quad_perm:[0,0,0,0] row_mask:0xf bank_mask:0xf// 000000025860: 0AF0F0FA FF0000FA
	v_mul_f32_dpp v121, v250, v121 quad_perm:[1,1,1,1] row_mask:0xf bank_mask:0xf// 000000025868: 0AF2F2FA FF0055FA
	v_mul_f32_dpp v122, v250, v122 quad_perm:[2,2,2,2] row_mask:0xf bank_mask:0xf// 000000025870: 0AF4F4FA FF00AAFA
	v_mul_f32_dpp v123, v250, v123 quad_perm:[3,3,3,3] row_mask:0xf bank_mask:0xf// 000000025878: 0AF6F6FA FF00FFFA
	v_mul_f32_dpp v124, v251, v124 quad_perm:[0,0,0,0] row_mask:0xf bank_mask:0xf// 000000025880: 0AF8F8FA FF0000FB
	v_mul_f32_dpp v125, v251, v125 quad_perm:[1,1,1,1] row_mask:0xf bank_mask:0xf// 000000025888: 0AFAFAFA FF0055FB
	v_mul_f32_dpp v126, v251, v126 quad_perm:[2,2,2,2] row_mask:0xf bank_mask:0xf// 000000025890: 0AFCFCFA FF00AAFB
	v_mul_f32_dpp v127, v251, v127 quad_perm:[3,3,3,3] row_mask:0xf bank_mask:0xf// 000000025898: 0AFEFEFA FF00FFFB
	buffer_load_dwordx4 a[20:23], v24, s[16:19], 0 offen offset:1024// 0000000258A0: E05C1400 80841418
	s_cmp_le_i32 s90, s89                                      // 0000000258A8: BF05595A
	s_cbranch_scc1 label_8E1D                                  // 0000000258AC: BF850071
	v_mov_b32_e32 v66, 0xff800000                              // 0000000258B0: 7E8402FF FF800000
	s_mov_b32 s60, s90                                         // 0000000258B8: BEBC005A
	s_add_u32 s61, s89, 0xff                                   // 0000000258BC: 803DFF59 000000FF
	v_mov_b32_e32 v64, s61                                     // 0000000258C4: 7E80023D
	v_lshrrev_b32_e32 v240, 4, v0                              // 0000000258C8: 21E00084
	v_mul_i32_i24_e32 v240, 4, v240                            // 0000000258CC: 0DE1E084
	v_add_u32_e32 v240, s60, v240                              // 0000000258D0: 69E1E03C
	s_mov_b32 s61, 0                                           // 0000000258D4: BEBD0080
	s_mul_i32 s60, 16, s7                                      // 0000000258D8: 923C0790
	v_sub_u32_e64 v240, v240, s61                              // 0000000258DC: D13500F0 00007BF0
	v_add_u32_e32 v240, s60, v240                              // 0000000258E4: 69E1E03C
	v_add_u32_e32 v241, 1, v240                                // 0000000258E8: 69E3E081
	v_add_u32_e32 v242, 2, v240                                // 0000000258EC: 69E5E082
	v_add_u32_e32 v243, 3, v240                                // 0000000258F0: 69E7E083
	v_cmp_le_u32_e64 s[40:41], v240, v64                       // 0000000258F4: D0CB0028 000281F0
	v_add_u32_e32 v240, 64, v240                               // 0000000258FC: 69E1E0C0
	s_nop 0                                                    // 000000025900: BF800000
	v_cndmask_b32_e64 v112, v66, v112, s[40:41]                // 000000025904: D1000070 00A2E142
	v_cmp_le_u32_e64 s[40:41], v241, v64                       // 00000002590C: D0CB0028 000281F1
	v_add_u32_e32 v241, 64, v241                               // 000000025914: 69E3E2C0
	s_nop 0                                                    // 000000025918: BF800000
	v_cndmask_b32_e64 v113, v66, v113, s[40:41]                // 00000002591C: D1000071 00A2E342
	v_cmp_le_u32_e64 s[40:41], v242, v64                       // 000000025924: D0CB0028 000281F2
	v_add_u32_e32 v242, 64, v242                               // 00000002592C: 69E5E4C0
	s_nop 0                                                    // 000000025930: BF800000
	v_cndmask_b32_e64 v114, v66, v114, s[40:41]                // 000000025934: D1000072 00A2E542
	v_cmp_le_u32_e64 s[40:41], v243, v64                       // 00000002593C: D0CB0028 000281F3
	v_add_u32_e32 v243, 64, v243                               // 000000025944: 69E7E6C0
	s_nop 0                                                    // 000000025948: BF800000
	v_cndmask_b32_e64 v115, v66, v115, s[40:41]                // 00000002594C: D1000073 00A2E742
	v_cmp_le_u32_e64 s[40:41], v240, v64                       // 000000025954: D0CB0028 000281F0
	v_add_u32_e32 v240, 64, v240                               // 00000002595C: 69E1E0C0
	s_nop 0                                                    // 000000025960: BF800000
	v_cndmask_b32_e64 v116, v66, v116, s[40:41]                // 000000025964: D1000074 00A2E942
	v_cmp_le_u32_e64 s[40:41], v241, v64                       // 00000002596C: D0CB0028 000281F1
	v_add_u32_e32 v241, 64, v241                               // 000000025974: 69E3E2C0
	s_nop 0                                                    // 000000025978: BF800000
	v_cndmask_b32_e64 v117, v66, v117, s[40:41]                // 00000002597C: D1000075 00A2EB42
	v_cmp_le_u32_e64 s[40:41], v242, v64                       // 000000025984: D0CB0028 000281F2
	v_add_u32_e32 v242, 64, v242                               // 00000002598C: 69E5E4C0
	s_nop 0                                                    // 000000025990: BF800000
	v_cndmask_b32_e64 v118, v66, v118, s[40:41]                // 000000025994: D1000076 00A2ED42
	v_cmp_le_u32_e64 s[40:41], v243, v64                       // 00000002599C: D0CB0028 000281F3
	v_add_u32_e32 v243, 64, v243                               // 0000000259A4: 69E7E6C0
	s_nop 0                                                    // 0000000259A8: BF800000
	v_cndmask_b32_e64 v119, v66, v119, s[40:41]                // 0000000259AC: D1000077 00A2EF42
	v_cmp_le_u32_e64 s[40:41], v240, v64                       // 0000000259B4: D0CB0028 000281F0
	v_add_u32_e32 v240, 64, v240                               // 0000000259BC: 69E1E0C0
	s_nop 0                                                    // 0000000259C0: BF800000
	v_cndmask_b32_e64 v120, v66, v120, s[40:41]                // 0000000259C4: D1000078 00A2F142
	v_cmp_le_u32_e64 s[40:41], v241, v64                       // 0000000259CC: D0CB0028 000281F1
	v_add_u32_e32 v241, 64, v241                               // 0000000259D4: 69E3E2C0
	s_nop 0                                                    // 0000000259D8: BF800000
	v_cndmask_b32_e64 v121, v66, v121, s[40:41]                // 0000000259DC: D1000079 00A2F342
	v_cmp_le_u32_e64 s[40:41], v242, v64                       // 0000000259E4: D0CB0028 000281F2
	v_add_u32_e32 v242, 64, v242                               // 0000000259EC: 69E5E4C0
	s_nop 0                                                    // 0000000259F0: BF800000
	v_cndmask_b32_e64 v122, v66, v122, s[40:41]                // 0000000259F4: D100007A 00A2F542
	v_cmp_le_u32_e64 s[40:41], v243, v64                       // 0000000259FC: D0CB0028 000281F3
	v_add_u32_e32 v243, 64, v243                               // 000000025A04: 69E7E6C0
	s_nop 0                                                    // 000000025A08: BF800000
	v_cndmask_b32_e64 v123, v66, v123, s[40:41]                // 000000025A0C: D100007B 00A2F742
	v_cmp_le_u32_e64 s[40:41], v240, v64                       // 000000025A14: D0CB0028 000281F0
	v_add_u32_e32 v240, 64, v240                               // 000000025A1C: 69E1E0C0
	s_nop 0                                                    // 000000025A20: BF800000
	v_cndmask_b32_e64 v124, v66, v124, s[40:41]                // 000000025A24: D100007C 00A2F942
	v_cmp_le_u32_e64 s[40:41], v241, v64                       // 000000025A2C: D0CB0028 000281F1
	v_add_u32_e32 v241, 64, v241                               // 000000025A34: 69E3E2C0
	s_nop 0                                                    // 000000025A38: BF800000
	v_cndmask_b32_e64 v125, v66, v125, s[40:41]                // 000000025A3C: D100007D 00A2FB42
	v_cmp_le_u32_e64 s[40:41], v242, v64                       // 000000025A44: D0CB0028 000281F2
	v_add_u32_e32 v242, 64, v242                               // 000000025A4C: 69E5E4C0
	s_nop 0                                                    // 000000025A50: BF800000
	v_cndmask_b32_e64 v126, v66, v126, s[40:41]                // 000000025A54: D100007E 00A2FD42
	v_cmp_le_u32_e64 s[40:41], v243, v64                       // 000000025A5C: D0CB0028 000281F3
	v_add_u32_e32 v243, 64, v243                               // 000000025A64: 69E7E6C0
	s_nop 0                                                    // 000000025A68: BF800000
	v_cndmask_b32_e64 v127, v66, v127, s[40:41]                // 000000025A6C: D100007F 00A2FF42

0000000000025a74 <label_8E1D>:
	v_mov_b32_e32 v48, v112                                    // 000000025A74: 7E600370
	v_max3_f32 v48, v112, v113, v48                            // 000000025A78: D1D30030 04C2E370
	v_max3_f32 v48, v114, v115, v48                            // 000000025A80: D1D30030 04C2E772
	v_max3_f32 v48, v116, v117, v48                            // 000000025A88: D1D30030 04C2EB74
	v_max3_f32 v48, v118, v119, v48                            // 000000025A90: D1D30030 04C2EF76
	v_max3_f32 v48, v120, v121, v48                            // 000000025A98: D1D30030 04C2F378
	v_max3_f32 v48, v122, v123, v48                            // 000000025AA0: D1D30030 04C2F77A
	v_max3_f32 v48, v124, v125, v48                            // 000000025AA8: D1D30030 04C2FB7C
	v_max3_f32 v48, v126, v127, v48                            // 000000025AB0: D1D30030 04C2FF7E
	ds_write_b32 v8, v48 offset:16896                          // 000000025AB8: D81A4200 00003008
	buffer_load_dwordx4 a[24:27], v25, s[16:19], 0 offen       // 000000025AC0: E05C1000 80841819
	v_mul_u32_u24_dpp v64, v16, v54 row_newbcast:1 row_mask:0xf bank_mask:0xf// 000000025AC8: 10806CFA FF015110
	v_mul_u32_u24_dpp v65, v16, v54 row_newbcast:5 row_mask:0xf bank_mask:0xf// 000000025AD0: 10826CFA FF015510
	v_mul_u32_u24_dpp v66, v16, v54 row_newbcast:9 row_mask:0xf bank_mask:0xf// 000000025AD8: 10846CFA FF015910
	v_mul_u32_u24_dpp v67, v16, v54 row_newbcast:13 row_mask:0xf bank_mask:0xf// 000000025AE0: 10866CFA FF015D10
	v_add_u32_e32 v30, v64, v6                                 // 000000025AE8: 683C0D40
	v_add_u32_e32 v31, v65, v6                                 // 000000025AEC: 683E0D41
	v_add_u32_e32 v32, v66, v6                                 // 000000025AF0: 68400D42
	v_add_u32_e32 v33, v67, v6                                 // 000000025AF4: 68420D43
	v_mul_f32_e32 v208, v49, v208                              // 000000025AF8: 0BA1A131
	v_mul_f32_e32 v209, v49, v209                              // 000000025AFC: 0BA3A331
	v_mul_f32_e32 v210, v49, v210                              // 000000025B00: 0BA5A531
	v_mul_f32_e32 v211, v49, v211                              // 000000025B04: 0BA7A731
	v_mul_f32_e32 v212, v49, v212                              // 000000025B08: 0BA9A931
	v_mul_f32_e32 v213, v49, v213                              // 000000025B0C: 0BABAB31
	v_mul_f32_e32 v214, v49, v214                              // 000000025B10: 0BADAD31
	v_mul_f32_e32 v215, v49, v215                              // 000000025B14: 0BAFAF31
	s_waitcnt lgkmcnt(0)                                       // 000000025B18: BF8CC07F
	s_barrier                                                  // 000000025B1C: BF8A0000
	ds_read_b32 v64, v7 offset:16896                           // 000000025B20: D86C4200 40000007
	ds_read_b32 v65, v7 offset:16960                           // 000000025B28: D86C4240 41000007
	ds_read_b32 v66, v7 offset:17024                           // 000000025B30: D86C4280 42000007
	ds_read_b32 v67, v7 offset:17088                           // 000000025B38: D86C42C0 43000007
	ds_read_b32 v68, v7 offset:17152                           // 000000025B40: D86C4300 44000007
	ds_read_b32 v69, v7 offset:17216                           // 000000025B48: D86C4340 45000007
	ds_read_b32 v70, v7 offset:17280                           // 000000025B50: D86C4380 46000007
	ds_read_b32 v71, v7 offset:17344                           // 000000025B58: D86C43C0 47000007
	ds_read_b32 v72, v7 offset:17408                           // 000000025B60: D86C4400 48000007
	ds_read_b32 v73, v7 offset:17472                           // 000000025B68: D86C4440 49000007
	ds_read_b32 v74, v7 offset:17536                           // 000000025B70: D86C4480 4A000007
	ds_read_b32 v75, v7 offset:17600                           // 000000025B78: D86C44C0 4B000007
	ds_read_b32 v76, v7 offset:17664                           // 000000025B80: D86C4500 4C000007
	ds_read_b32 v77, v7 offset:17728                           // 000000025B88: D86C4540 4D000007
	ds_read_b32 v78, v7 offset:17792                           // 000000025B90: D86C4580 4E000007
	ds_read_b32 v79, v7 offset:17856                           // 000000025B98: D86C45C0 4F000007
	buffer_load_dwordx4 a[28:31], v25, s[16:19], 0 offen offset:1024// 000000025BA0: E05C1400 80841C19
	v_mul_f32_e32 v176, v44, v176                              // 000000025BA8: 0B61612C
	v_mul_f32_e32 v177, v44, v177                              // 000000025BAC: 0B63632C
	v_mul_f32_e32 v178, v44, v178                              // 000000025BB0: 0B65652C
	v_mul_f32_e32 v179, v44, v179                              // 000000025BB4: 0B67672C
	v_mul_f32_e32 v180, v44, v180                              // 000000025BB8: 0B69692C
	v_mul_f32_e32 v181, v44, v181                              // 000000025BBC: 0B6B6B2C
	v_mul_f32_e32 v182, v44, v182                              // 000000025BC0: 0B6D6D2C
	v_mul_f32_e32 v183, v44, v183                              // 000000025BC4: 0B6F6F2C
	s_waitcnt lgkmcnt(0)                                       // 000000025BC8: BF8CC07F
	v_max3_f32 v48, v64, v65, v48                              // 000000025BCC: D1D30030 04C28340
	v_max3_f32 v48, v66, v67, v48                              // 000000025BD4: D1D30030 04C28742
	v_max3_f32 v48, v68, v69, v48                              // 000000025BDC: D1D30030 04C28B44
	v_max3_f32 v48, v70, v71, v48                              // 000000025BE4: D1D30030 04C28F46
	v_max3_f32 v48, v72, v73, v48                              // 000000025BEC: D1D30030 04C29348
	v_max3_f32 v48, v74, v75, v48                              // 000000025BF4: D1D30030 04C2974A
	v_max3_f32 v48, v76, v77, v48                              // 000000025BFC: D1D30030 04C29B4C
	v_max3_f32 v48, v78, v79, v48                              // 000000025C04: D1D30030 04C29F4E
	buffer_load_dwordx4 a[64:67], v30, s[20:23], 0 offen       // 000000025C0C: E05C1000 8085401E
	v_mov_b32_e32 v64, 0xff800000                              // 000000025C14: 7E8002FF FF800000
	v_cmp_eq_u32_e64 s[40:41], v64, v11                        // 000000025C1C: D0CA0028 00021740
	s_nop 1                                                    // 000000025C24: BF800001
	v_max_f32_e32 v15, v48, v11                                // 000000025C28: 161E1730
	v_mul_f32_e32 v53, s64, v15                                // 000000025C2C: 0A6A1E40
	v_fma_f32 v112, v112, s64, -v53                            // 000000025C30: D1CB0070 84D48170
	v_fma_f32 v113, v113, s64, -v53                            // 000000025C38: D1CB0071 84D48171
	v_fma_f32 v114, v114, s64, -v53                            // 000000025C40: D1CB0072 84D48172
	v_fma_f32 v115, v115, s64, -v53                            // 000000025C48: D1CB0073 84D48173
	v_fma_f32 v116, v116, s64, -v53                            // 000000025C50: D1CB0074 84D48174
	v_fma_f32 v117, v117, s64, -v53                            // 000000025C58: D1CB0075 84D48175
	v_fma_f32 v118, v118, s64, -v53                            // 000000025C60: D1CB0076 84D48176
	v_fma_f32 v119, v119, s64, -v53                            // 000000025C68: D1CB0077 84D48177
	v_fma_f32 v120, v120, s64, -v53                            // 000000025C70: D1CB0078 84D48178
	v_fma_f32 v121, v121, s64, -v53                            // 000000025C78: D1CB0079 84D48179
	v_fma_f32 v122, v122, s64, -v53                            // 000000025C80: D1CB007A 84D4817A
	v_fma_f32 v123, v123, s64, -v53                            // 000000025C88: D1CB007B 84D4817B
	v_fma_f32 v124, v124, s64, -v53                            // 000000025C90: D1CB007C 84D4817C
	v_fma_f32 v125, v125, s64, -v53                            // 000000025C98: D1CB007D 84D4817D
	v_fma_f32 v126, v126, s64, -v53                            // 000000025CA0: D1CB007E 84D4817E
	v_fma_f32 v127, v127, s64, -v53                            // 000000025CA8: D1CB007F 84D4817F
	buffer_load_dwordx4 a[68:71], v31, s[20:23], 0 offen       // 000000025CB0: E05C1000 8085441F
	v_exp_f32_e32 v112, v112                                   // 000000025CB8: 7EE04170
	v_exp_f32_e32 v113, v113                                   // 000000025CBC: 7EE24171
	v_exp_f32_e32 v114, v114                                   // 000000025CC0: 7EE44172
	v_exp_f32_e32 v115, v115                                   // 000000025CC4: 7EE64173
	v_exp_f32_e32 v116, v116                                   // 000000025CC8: 7EE84174
	v_exp_f32_e32 v117, v117                                   // 000000025CCC: 7EEA4175
	v_exp_f32_e32 v118, v118                                   // 000000025CD0: 7EEC4176
	v_exp_f32_e32 v119, v119                                   // 000000025CD4: 7EEE4177
	v_exp_f32_e32 v120, v120                                   // 000000025CD8: 7EF04178
	v_exp_f32_e32 v121, v121                                   // 000000025CDC: 7EF24179
	v_exp_f32_e32 v122, v122                                   // 000000025CE0: 7EF4417A
	v_exp_f32_e32 v123, v123                                   // 000000025CE4: 7EF6417B
	v_exp_f32_e32 v124, v124                                   // 000000025CE8: 7EF8417C
	v_exp_f32_e32 v125, v125                                   // 000000025CEC: 7EFA417D
	v_exp_f32_e32 v126, v126                                   // 000000025CF0: 7EFC417E
	v_exp_f32_e32 v127, v127                                   // 000000025CF4: 7EFE417F
	buffer_load_dwordx4 a[72:75], v32, s[20:23], 0 offen       // 000000025CF8: E05C1000 80854820
	v_mul_f32_dpp v240, v252, v112 quad_perm:[0,0,0,0] row_mask:0xf bank_mask:0xf// 000000025D00: 0BE0E0FA FF0000FC
	v_mul_f32_dpp v241, v252, v113 quad_perm:[1,1,1,1] row_mask:0xf bank_mask:0xf// 000000025D08: 0BE2E2FA FF0055FC
	v_mul_f32_dpp v242, v252, v114 quad_perm:[2,2,2,2] row_mask:0xf bank_mask:0xf// 000000025D10: 0BE4E4FA FF00AAFC
	v_mul_f32_dpp v243, v252, v115 quad_perm:[3,3,3,3] row_mask:0xf bank_mask:0xf// 000000025D18: 0BE6E6FA FF00FFFC
	v_mul_f32_dpp v244, v253, v116 quad_perm:[0,0,0,0] row_mask:0xf bank_mask:0xf// 000000025D20: 0BE8E8FA FF0000FD
	v_mul_f32_dpp v245, v253, v117 quad_perm:[1,1,1,1] row_mask:0xf bank_mask:0xf// 000000025D28: 0BEAEAFA FF0055FD
	v_mul_f32_dpp v246, v253, v118 quad_perm:[2,2,2,2] row_mask:0xf bank_mask:0xf// 000000025D30: 0BECECFA FF00AAFD
	v_mul_f32_dpp v247, v253, v119 quad_perm:[3,3,3,3] row_mask:0xf bank_mask:0xf// 000000025D38: 0BEEEEFA FF00FFFD
	v_mul_f32_dpp v248, v254, v120 quad_perm:[0,0,0,0] row_mask:0xf bank_mask:0xf// 000000025D40: 0BF0F0FA FF0000FE
	v_mul_f32_dpp v249, v254, v121 quad_perm:[1,1,1,1] row_mask:0xf bank_mask:0xf// 000000025D48: 0BF2F2FA FF0055FE
	v_mul_f32_dpp v250, v254, v122 quad_perm:[2,2,2,2] row_mask:0xf bank_mask:0xf// 000000025D50: 0BF4F4FA FF00AAFE
	v_mul_f32_dpp v251, v254, v123 quad_perm:[3,3,3,3] row_mask:0xf bank_mask:0xf// 000000025D58: 0BF6F6FA FF00FFFE
	v_mul_f32_dpp v252, v255, v124 quad_perm:[0,0,0,0] row_mask:0xf bank_mask:0xf// 000000025D60: 0BF8F8FA FF0000FF
	v_mul_f32_dpp v253, v255, v125 quad_perm:[1,1,1,1] row_mask:0xf bank_mask:0xf// 000000025D68: 0BFAFAFA FF0055FF
	v_mul_f32_dpp v254, v255, v126 quad_perm:[2,2,2,2] row_mask:0xf bank_mask:0xf// 000000025D70: 0BFCFCFA FF00AAFF
	v_mul_f32_dpp v255, v255, v127 quad_perm:[3,3,3,3] row_mask:0xf bank_mask:0xf// 000000025D78: 0BFEFEFA FF00FFFF
	v_mov_b32_e32 v48, 0x358637bd                              // 000000025D80: 7E6002FF 358637BD
	v_max3_f32 v48, |v240|, |v241|, v48                        // 000000025D88: D1D30330 04C3E3F0
	v_max3_f32 v48, |v242|, |v243|, v48                        // 000000025D90: D1D30330 04C3E7F2
	v_max3_f32 v48, |v244|, |v245|, v48                        // 000000025D98: D1D30330 04C3EBF4
	v_max3_f32 v48, |v246|, |v247|, v48                        // 000000025DA0: D1D30330 04C3EFF6
	v_max3_f32 v48, |v248|, |v249|, v48                        // 000000025DA8: D1D30330 04C3F3F8
	v_max3_f32 v48, |v250|, |v251|, v48                        // 000000025DB0: D1D30330 04C3F7FA
	v_max3_f32 v48, |v252|, |v253|, v48                        // 000000025DB8: D1D30330 04C3FBFC
	v_max3_f32 v48, |v254|, |v255|, v48                        // 000000025DC0: D1D30330 04C3FFFE
	buffer_load_dwordx4 a[76:79], v33, s[20:23], 0 offen       // 000000025DC8: E05C1000 80854C21
	ds_write_b32 v8, v48 offset:20992                          // 000000025DD0: D81A5200 00003008
	v_sub_f32_e32 v49, v11, v15                                // 000000025DD8: 04621F0B
	v_cndmask_b32_e64 v49, v49, 0, s[40:41]                    // 000000025DDC: D1000031 00A10131
	v_mov_b32_e32 v11, v15                                     // 000000025DE4: 7E16030F
	v_mul_f32_e32 v49, s64, v49                                // 000000025DE8: 0A626240
	v_exp_f32_e32 v49, v49                                     // 000000025DEC: 7E624131
	s_waitcnt lgkmcnt(0)                                       // 000000025DF0: BF8CC07F
	s_barrier                                                  // 000000025DF4: BF8A0000
	ds_read_b32 v64, v7 offset:20992                           // 000000025DF8: D86C5200 40000007
	ds_read_b32 v65, v7 offset:21056                           // 000000025E00: D86C5240 41000007
	ds_read_b32 v66, v7 offset:21120                           // 000000025E08: D86C5280 42000007
	ds_read_b32 v67, v7 offset:21184                           // 000000025E10: D86C52C0 43000007
	ds_read_b32 v68, v7 offset:21248                           // 000000025E18: D86C5300 44000007
	ds_read_b32 v69, v7 offset:21312                           // 000000025E20: D86C5340 45000007
	ds_read_b32 v70, v7 offset:21376                           // 000000025E28: D86C5380 46000007
	ds_read_b32 v71, v7 offset:21440                           // 000000025E30: D86C53C0 47000007
	ds_read_b32 v72, v7 offset:21504                           // 000000025E38: D86C5400 48000007
	ds_read_b32 v73, v7 offset:21568                           // 000000025E40: D86C5440 49000007
	ds_read_b32 v74, v7 offset:21632                           // 000000025E48: D86C5480 4A000007
	ds_read_b32 v75, v7 offset:21696                           // 000000025E50: D86C54C0 4B000007
	ds_read_b32 v76, v7 offset:21760                           // 000000025E58: D86C5500 4C000007
	ds_read_b32 v77, v7 offset:21824                           // 000000025E60: D86C5540 4D000007
	ds_read_b32 v78, v7 offset:21888                           // 000000025E68: D86C5580 4E000007
	ds_read_b32 v79, v7 offset:21952                           // 000000025E70: D86C55C0 4F000007
	v_mul_f32_e32 v38, v49, v38                                // 000000025E78: 0A4C4D31
	v_mov_b32_e32 v15, v112                                    // 000000025E7C: 7E1E0370
	v_add_f32_e32 v15, v113, v15                               // 000000025E80: 021E1F71
	v_add_f32_e32 v15, v114, v15                               // 000000025E84: 021E1F72
	v_add_f32_e32 v15, v115, v15                               // 000000025E88: 021E1F73
	v_add_f32_e32 v15, v116, v15                               // 000000025E8C: 021E1F74
	v_add_f32_e32 v15, v117, v15                               // 000000025E90: 021E1F75
	v_add_f32_e32 v15, v118, v15                               // 000000025E94: 021E1F76
	v_add_f32_e32 v15, v119, v15                               // 000000025E98: 021E1F77
	v_add_f32_e32 v15, v120, v15                               // 000000025E9C: 021E1F78
	v_add_f32_e32 v15, v121, v15                               // 000000025EA0: 021E1F79
	v_add_f32_e32 v15, v122, v15                               // 000000025EA4: 021E1F7A
	v_add_f32_e32 v15, v123, v15                               // 000000025EA8: 021E1F7B
	v_add_f32_e32 v15, v124, v15                               // 000000025EAC: 021E1F7C
	v_add_f32_e32 v15, v125, v15                               // 000000025EB0: 021E1F7D
	v_add_f32_e32 v15, v126, v15                               // 000000025EB4: 021E1F7E
	v_add_f32_e32 v15, v127, v15                               // 000000025EB8: 021E1F7F
	v_add_f32_e32 v38, v15, v38                                // 000000025EBC: 024C4D0F
	s_waitcnt lgkmcnt(0)                                       // 000000025EC0: BF8CC07F
	v_max3_f32 v48, |v64|, |v65|, v48                          // 000000025EC4: D1D30330 04C28340
	v_max3_f32 v48, |v66|, |v67|, v48                          // 000000025ECC: D1D30330 04C28742
	v_max3_f32 v48, |v68|, |v69|, v48                          // 000000025ED4: D1D30330 04C28B44
	v_max3_f32 v48, |v70|, |v71|, v48                          // 000000025EDC: D1D30330 04C28F46
	v_max3_f32 v48, |v72|, |v73|, v48                          // 000000025EE4: D1D30330 04C29348
	v_max3_f32 v48, |v74|, |v75|, v48                          // 000000025EEC: D1D30330 04C2974A
	v_max3_f32 v48, |v76|, |v77|, v48                          // 000000025EF4: D1D30330 04C29B4C
	v_max3_f32 v48, |v78|, |v79|, v48                          // 000000025EFC: D1D30330 04C29F4E
	s_nop 2                                                    // 000000025F04: BF800002
	v_rcp_f32_e32 v48, v48                                     // 000000025F08: 7E604530
	s_nop 1                                                    // 000000025F0C: BF800001
	v_mul_f32_e32 v48, 0x43700000, v48                         // 000000025F10: 0A6060FF 43700000
	v_mul_f32_e32 v112, v48, v240                              // 000000025F18: 0AE1E130
	v_mul_f32_e32 v113, v48, v241                              // 000000025F1C: 0AE3E330
	v_mul_f32_e32 v114, v48, v242                              // 000000025F20: 0AE5E530
	v_mul_f32_e32 v115, v48, v243                              // 000000025F24: 0AE7E730
	v_mul_f32_e32 v116, v48, v244                              // 000000025F28: 0AE9E930
	v_mul_f32_e32 v117, v48, v245                              // 000000025F2C: 0AEBEB30
	v_mul_f32_e32 v118, v48, v246                              // 000000025F30: 0AEDED30
	v_mul_f32_e32 v119, v48, v247                              // 000000025F34: 0AEFEF30
	v_mul_f32_e32 v120, v48, v248                              // 000000025F38: 0AF1F130
	v_mul_f32_e32 v121, v48, v249                              // 000000025F3C: 0AF3F330
	v_mul_f32_e32 v122, v48, v250                              // 000000025F40: 0AF5F530
	v_mul_f32_e32 v123, v48, v251                              // 000000025F44: 0AF7F730
	v_mul_f32_e32 v124, v48, v252                              // 000000025F48: 0AF9F930
	v_mul_f32_e32 v125, v48, v253                              // 000000025F4C: 0AFBFB30
	v_mul_f32_e32 v126, v48, v254                              // 000000025F50: 0AFDFD30
	v_mul_f32_e32 v127, v48, v255                              // 000000025F54: 0AFFFF30
	v_cvt_pk_fp8_f32 v112, v112, v113                          // 000000025F58: D2A20070 0002E370
	v_cvt_pk_fp8_f32 v112, v114, v115 op_sel:[0,0,1]           // 000000025F60: D2A24070 0002E772
	v_cvt_pk_fp8_f32 v113, v116, v117                          // 000000025F68: D2A20071 0002EB74
	v_cvt_pk_fp8_f32 v113, v118, v119 op_sel:[0,0,1]           // 000000025F70: D2A24071 0002EF76
	v_cvt_pk_fp8_f32 v114, v120, v121                          // 000000025F78: D2A20072 0002F378
	v_cvt_pk_fp8_f32 v114, v122, v123 op_sel:[0,0,1]           // 000000025F80: D2A24072 0002F77A
	v_cvt_pk_fp8_f32 v115, v124, v125                          // 000000025F88: D2A20073 0002FB7C
	v_cvt_pk_fp8_f32 v115, v126, v127 op_sel:[0,0,1]           // 000000025F90: D2A24073 0002FF7E
	ds_write_b32 v10, v112 offset:25088                        // 000000025F98: D81A6200 0000700A
	ds_write_b32 v10, v113 offset:26112                        // 000000025FA0: D81A6600 0000710A
	ds_write_b32 v10, v114 offset:27136                        // 000000025FA8: D81A6A00 0000720A
	ds_write_b32 v10, v115 offset:28160                        // 000000025FB0: D81A6E00 0000730A
	v_add_f32_e32 v208, v208, v176                             // 000000025FB8: 03A161D0
	v_add_f32_e32 v209, v209, v177                             // 000000025FBC: 03A363D1
	v_add_f32_e32 v210, v210, v178                             // 000000025FC0: 03A565D2
	v_add_f32_e32 v211, v211, v179                             // 000000025FC4: 03A767D3
	v_add_f32_e32 v212, v212, v180                             // 000000025FC8: 03A969D4
	v_add_f32_e32 v213, v213, v181                             // 000000025FCC: 03AB6BD5
	v_add_f32_e32 v214, v214, v182                             // 000000025FD0: 03AD6DD6
	v_add_f32_e32 v215, v215, v183                             // 000000025FD4: 03AF6FD7
	v_rcp_f32_e32 v44, v48                                     // 000000025FD8: 7E584530
	s_waitcnt lgkmcnt(0)                                       // 000000025FDC: BF8CC07F
	s_barrier                                                  // 000000025FE0: BF8A0000
	ds_read_b64 v[112:113], v9 offset:25088                    // 000000025FE4: D8EC6200 70000009
	ds_read_b64 v[114:115], v9 offset:25216                    // 000000025FEC: D8EC6280 72000009
	ds_read_b64 v[116:117], v9 offset:26112                    // 000000025FF4: D8EC6600 74000009
	ds_read_b64 v[118:119], v9 offset:26240                    // 000000025FFC: D8EC6680 76000009
	ds_read_b64 v[120:121], v9 offset:27136                    // 000000026004: D8EC6A00 78000009
	ds_read_b64 v[122:123], v9 offset:27264                    // 00000002600C: D8EC6A80 7A000009
	ds_read_b64 v[124:125], v9 offset:28160                    // 000000026014: D8EC6E00 7C000009
	ds_read_b64 v[126:127], v9 offset:28288                    // 00000002601C: D8EC6E80 7E000009
	v_mov_b32_dpp v64, v43 row_shr:4 row_mask:0xf bank_mask:0xf// 000000026024: 7E8002FA FF01142B
	v_mov_b32_dpp v65, v43 row_shl:4 row_mask:0xf bank_mask:0xf// 00000002602C: 7E8202FA FF01042B
	v_cndmask_b32_e64 v248, v43, v64, s[44:45]                 // 000000026034: D10000F8 00B2812B
	v_cndmask_b32_e64 v249, v65, v43, s[44:45]                 // 00000002603C: D10000F9 00B25741
	v_mov_b32_dpp v64, v248 row_shr:8 row_mask:0xf bank_mask:0xf// 000000026044: 7E8002FA FF0118F8
	v_mov_b32_dpp v65, v248 row_shl:8 row_mask:0xf bank_mask:0xf// 00000002604C: 7E8202FA FF0108F8
	v_mov_b32_dpp v66, v249 row_shr:8 row_mask:0xf bank_mask:0xf// 000000026054: 7E8402FA FF0118F9
	v_mov_b32_dpp v67, v249 row_shl:8 row_mask:0xf bank_mask:0xf// 00000002605C: 7E8602FA FF0108F9
	v_mov_b32_e32 v68, v248                                    // 000000026064: 7E8803F8
	v_mov_b32_e32 v69, v249                                    // 000000026068: 7E8A03F9
	v_cndmask_b32_e64 v248, v68, v64, s[42:43]                 // 00000002606C: D10000F8 00AA8144
	v_cndmask_b32_e64 v250, v68, v65, s[78:79]                 // 000000026074: D10000FA 013A8344
	v_cndmask_b32_e64 v249, v69, v66, s[42:43]                 // 00000002607C: D10000F9 00AA8545
	v_cndmask_b32_e64 v251, v69, v67, s[78:79]                 // 000000026084: D10000FB 013A8745
	v_mov_b32_dpp v64, v58 row_shr:4 row_mask:0xf bank_mask:0xf// 00000002608C: 7E8002FA FF01143A
	v_mov_b32_dpp v65, v58 row_shl:4 row_mask:0xf bank_mask:0xf// 000000026094: 7E8202FA FF01043A
	v_cndmask_b32_e64 v252, v58, v64, s[44:45]                 // 00000002609C: D10000FC 00B2813A
	v_cndmask_b32_e64 v253, v65, v58, s[44:45]                 // 0000000260A4: D10000FD 00B27541
	v_mov_b32_dpp v64, v252 row_shr:8 row_mask:0xf bank_mask:0xf// 0000000260AC: 7E8002FA FF0118FC
	v_mov_b32_dpp v65, v252 row_shl:8 row_mask:0xf bank_mask:0xf// 0000000260B4: 7E8202FA FF0108FC
	v_mov_b32_dpp v66, v253 row_shr:8 row_mask:0xf bank_mask:0xf// 0000000260BC: 7E8402FA FF0118FD
	v_mov_b32_dpp v67, v253 row_shl:8 row_mask:0xf bank_mask:0xf// 0000000260C4: 7E8602FA FF0108FD
	v_mov_b32_e32 v68, v252                                    // 0000000260CC: 7E8803FC
	v_mov_b32_e32 v69, v253                                    // 0000000260D0: 7E8A03FD
	v_cndmask_b32_e64 v252, v68, v64, s[42:43]                 // 0000000260D4: D10000FC 00AA8144
	v_cndmask_b32_e64 v254, v68, v65, s[78:79]                 // 0000000260DC: D10000FE 013A8344
	v_cndmask_b32_e64 v253, v69, v66, s[42:43]                 // 0000000260E4: D10000FD 00AA8545
	v_cndmask_b32_e64 v255, v69, v67, s[78:79]                 // 0000000260EC: D10000FF 013A8745
	v_mul_f32_e32 v128, v19, v128                              // 0000000260F4: 0B010113
	v_mul_f32_e32 v129, v19, v129                              // 0000000260F8: 0B030313
	v_mul_f32_e32 v130, v19, v130                              // 0000000260FC: 0B050513
	v_mul_f32_e32 v131, v19, v131                              // 000000026100: 0B070713
	v_mul_f32_e32 v132, v19, v132                              // 000000026104: 0B090913
	v_mul_f32_e32 v133, v19, v133                              // 000000026108: 0B0B0B13
	v_mul_f32_e32 v134, v19, v134                              // 00000002610C: 0B0D0D13
	v_mul_f32_e32 v135, v19, v135                              // 000000026110: 0B0F0F13
	v_mul_f32_e32 v136, v19, v136                              // 000000026114: 0B111113
	v_mul_f32_e32 v137, v19, v137                              // 000000026118: 0B131313
	v_mul_f32_e32 v138, v19, v138                              // 00000002611C: 0B151513
	v_mul_f32_e32 v139, v19, v139                              // 000000026120: 0B171713
	v_mul_f32_e32 v140, v19, v140                              // 000000026124: 0B191913
	v_mul_f32_e32 v141, v19, v141                              // 000000026128: 0B1B1B13
	v_mul_f32_e32 v142, v19, v142                              // 00000002612C: 0B1D1D13
	v_mul_f32_e32 v143, v19, v143                              // 000000026130: 0B1F1F13
	v_mul_f32_dpp v128, v248, v128 quad_perm:[0,0,0,0] row_mask:0xf bank_mask:0xf// 000000026134: 0B0100FA FF0000F8
	v_mul_f32_dpp v129, v248, v129 quad_perm:[1,1,1,1] row_mask:0xf bank_mask:0xf// 00000002613C: 0B0302FA FF0055F8
	v_mul_f32_dpp v130, v248, v130 quad_perm:[2,2,2,2] row_mask:0xf bank_mask:0xf// 000000026144: 0B0504FA FF00AAF8
	v_mul_f32_dpp v131, v248, v131 quad_perm:[3,3,3,3] row_mask:0xf bank_mask:0xf// 00000002614C: 0B0706FA FF00FFF8
	v_mul_f32_dpp v132, v249, v132 quad_perm:[0,0,0,0] row_mask:0xf bank_mask:0xf// 000000026154: 0B0908FA FF0000F9
	v_mul_f32_dpp v133, v249, v133 quad_perm:[1,1,1,1] row_mask:0xf bank_mask:0xf// 00000002615C: 0B0B0AFA FF0055F9
	v_mul_f32_dpp v134, v249, v134 quad_perm:[2,2,2,2] row_mask:0xf bank_mask:0xf// 000000026164: 0B0D0CFA FF00AAF9
	v_mul_f32_dpp v135, v249, v135 quad_perm:[3,3,3,3] row_mask:0xf bank_mask:0xf// 00000002616C: 0B0F0EFA FF00FFF9
	v_mul_f32_dpp v136, v250, v136 quad_perm:[0,0,0,0] row_mask:0xf bank_mask:0xf// 000000026174: 0B1110FA FF0000FA
	v_mul_f32_dpp v137, v250, v137 quad_perm:[1,1,1,1] row_mask:0xf bank_mask:0xf// 00000002617C: 0B1312FA FF0055FA
	v_mul_f32_dpp v138, v250, v138 quad_perm:[2,2,2,2] row_mask:0xf bank_mask:0xf// 000000026184: 0B1514FA FF00AAFA
	v_mul_f32_dpp v139, v250, v139 quad_perm:[3,3,3,3] row_mask:0xf bank_mask:0xf// 00000002618C: 0B1716FA FF00FFFA
	v_mul_f32_dpp v140, v251, v140 quad_perm:[0,0,0,0] row_mask:0xf bank_mask:0xf// 000000026194: 0B1918FA FF0000FB
	v_mul_f32_dpp v141, v251, v141 quad_perm:[1,1,1,1] row_mask:0xf bank_mask:0xf// 00000002619C: 0B1B1AFA FF0055FB
	v_mul_f32_dpp v142, v251, v142 quad_perm:[2,2,2,2] row_mask:0xf bank_mask:0xf// 0000000261A4: 0B1D1CFA FF00AAFB
	v_mul_f32_dpp v143, v251, v143 quad_perm:[3,3,3,3] row_mask:0xf bank_mask:0xf// 0000000261AC: 0B1F1EFA FF00FFFB
	s_cmp_le_i32 s90, s89                                      // 0000000261B4: BF05595A
	s_cbranch_scc1 label_9060                                  // 0000000261B8: BF850071
	v_mov_b32_e32 v66, 0xff800000                              // 0000000261BC: 7E8402FF FF800000
	s_mov_b32 s60, s90                                         // 0000000261C4: BEBC005A
	s_add_u32 s61, s89, 0xff                                   // 0000000261C8: 803DFF59 000000FF
	v_mov_b32_e32 v64, s61                                     // 0000000261D0: 7E80023D
	v_lshrrev_b32_e32 v240, 4, v0                              // 0000000261D4: 21E00084
	v_mul_i32_i24_e32 v240, 4, v240                            // 0000000261D8: 0DE1E084
	v_add_u32_e32 v240, s60, v240                              // 0000000261DC: 69E1E03C
	s_mov_b32 s61, 1                                           // 0000000261E0: BEBD0081
	s_mul_i32 s60, 16, s7                                      // 0000000261E4: 923C0790
	v_sub_u32_e64 v240, v240, s61                              // 0000000261E8: D13500F0 00007BF0
	v_add_u32_e32 v240, s60, v240                              // 0000000261F0: 69E1E03C
	v_add_u32_e32 v241, 1, v240                                // 0000000261F4: 69E3E081
	v_add_u32_e32 v242, 2, v240                                // 0000000261F8: 69E5E082
	v_add_u32_e32 v243, 3, v240                                // 0000000261FC: 69E7E083
	v_cmp_le_u32_e64 s[40:41], v240, v64                       // 000000026200: D0CB0028 000281F0
	v_add_u32_e32 v240, 64, v240                               // 000000026208: 69E1E0C0
	s_nop 0                                                    // 00000002620C: BF800000
	v_cndmask_b32_e64 v128, v66, v128, s[40:41]                // 000000026210: D1000080 00A30142
	v_cmp_le_u32_e64 s[40:41], v241, v64                       // 000000026218: D0CB0028 000281F1
	v_add_u32_e32 v241, 64, v241                               // 000000026220: 69E3E2C0
	s_nop 0                                                    // 000000026224: BF800000
	v_cndmask_b32_e64 v129, v66, v129, s[40:41]                // 000000026228: D1000081 00A30342
	v_cmp_le_u32_e64 s[40:41], v242, v64                       // 000000026230: D0CB0028 000281F2
	v_add_u32_e32 v242, 64, v242                               // 000000026238: 69E5E4C0
	s_nop 0                                                    // 00000002623C: BF800000
	v_cndmask_b32_e64 v130, v66, v130, s[40:41]                // 000000026240: D1000082 00A30542
	v_cmp_le_u32_e64 s[40:41], v243, v64                       // 000000026248: D0CB0028 000281F3
	v_add_u32_e32 v243, 64, v243                               // 000000026250: 69E7E6C0
	s_nop 0                                                    // 000000026254: BF800000
	v_cndmask_b32_e64 v131, v66, v131, s[40:41]                // 000000026258: D1000083 00A30742
	v_cmp_le_u32_e64 s[40:41], v240, v64                       // 000000026260: D0CB0028 000281F0
	v_add_u32_e32 v240, 64, v240                               // 000000026268: 69E1E0C0
	s_nop 0                                                    // 00000002626C: BF800000
	v_cndmask_b32_e64 v132, v66, v132, s[40:41]                // 000000026270: D1000084 00A30942
	v_cmp_le_u32_e64 s[40:41], v241, v64                       // 000000026278: D0CB0028 000281F1
	v_add_u32_e32 v241, 64, v241                               // 000000026280: 69E3E2C0
	s_nop 0                                                    // 000000026284: BF800000
	v_cndmask_b32_e64 v133, v66, v133, s[40:41]                // 000000026288: D1000085 00A30B42
	v_cmp_le_u32_e64 s[40:41], v242, v64                       // 000000026290: D0CB0028 000281F2
	v_add_u32_e32 v242, 64, v242                               // 000000026298: 69E5E4C0
	s_nop 0                                                    // 00000002629C: BF800000
	v_cndmask_b32_e64 v134, v66, v134, s[40:41]                // 0000000262A0: D1000086 00A30D42
	v_cmp_le_u32_e64 s[40:41], v243, v64                       // 0000000262A8: D0CB0028 000281F3
	v_add_u32_e32 v243, 64, v243                               // 0000000262B0: 69E7E6C0
	s_nop 0                                                    // 0000000262B4: BF800000
	v_cndmask_b32_e64 v135, v66, v135, s[40:41]                // 0000000262B8: D1000087 00A30F42
	v_cmp_le_u32_e64 s[40:41], v240, v64                       // 0000000262C0: D0CB0028 000281F0
	v_add_u32_e32 v240, 64, v240                               // 0000000262C8: 69E1E0C0
	s_nop 0                                                    // 0000000262CC: BF800000
	v_cndmask_b32_e64 v136, v66, v136, s[40:41]                // 0000000262D0: D1000088 00A31142
	v_cmp_le_u32_e64 s[40:41], v241, v64                       // 0000000262D8: D0CB0028 000281F1
	v_add_u32_e32 v241, 64, v241                               // 0000000262E0: 69E3E2C0
	s_nop 0                                                    // 0000000262E4: BF800000
	v_cndmask_b32_e64 v137, v66, v137, s[40:41]                // 0000000262E8: D1000089 00A31342
	v_cmp_le_u32_e64 s[40:41], v242, v64                       // 0000000262F0: D0CB0028 000281F2
	v_add_u32_e32 v242, 64, v242                               // 0000000262F8: 69E5E4C0
	s_nop 0                                                    // 0000000262FC: BF800000
	v_cndmask_b32_e64 v138, v66, v138, s[40:41]                // 000000026300: D100008A 00A31542
	v_cmp_le_u32_e64 s[40:41], v243, v64                       // 000000026308: D0CB0028 000281F3
	v_add_u32_e32 v243, 64, v243                               // 000000026310: 69E7E6C0
	s_nop 0                                                    // 000000026314: BF800000
	v_cndmask_b32_e64 v139, v66, v139, s[40:41]                // 000000026318: D100008B 00A31742
	v_cmp_le_u32_e64 s[40:41], v240, v64                       // 000000026320: D0CB0028 000281F0
	v_add_u32_e32 v240, 64, v240                               // 000000026328: 69E1E0C0
	s_nop 0                                                    // 00000002632C: BF800000
	v_cndmask_b32_e64 v140, v66, v140, s[40:41]                // 000000026330: D100008C 00A31942
	v_cmp_le_u32_e64 s[40:41], v241, v64                       // 000000026338: D0CB0028 000281F1
	v_add_u32_e32 v241, 64, v241                               // 000000026340: 69E3E2C0
	s_nop 0                                                    // 000000026344: BF800000
	v_cndmask_b32_e64 v141, v66, v141, s[40:41]                // 000000026348: D100008D 00A31B42
	v_cmp_le_u32_e64 s[40:41], v242, v64                       // 000000026350: D0CB0028 000281F2
	v_add_u32_e32 v242, 64, v242                               // 000000026358: 69E5E4C0
	s_nop 0                                                    // 00000002635C: BF800000
	v_cndmask_b32_e64 v142, v66, v142, s[40:41]                // 000000026360: D100008E 00A31D42
	v_cmp_le_u32_e64 s[40:41], v243, v64                       // 000000026368: D0CB0028 000281F3
	v_add_u32_e32 v243, 64, v243                               // 000000026370: 69E7E6C0
	s_nop 0                                                    // 000000026374: BF800000
	v_cndmask_b32_e64 v143, v66, v143, s[40:41]                // 000000026378: D100008F 00A31F42

0000000000026380 <label_9060>:
	v_mov_b32_e32 v48, v128                                    // 000000026380: 7E600380
	v_max3_f32 v48, v128, v129, v48                            // 000000026384: D1D30030 04C30380
	v_max3_f32 v48, v130, v131, v48                            // 00000002638C: D1D30030 04C30782
	v_max3_f32 v48, v132, v133, v48                            // 000000026394: D1D30030 04C30B84
	v_max3_f32 v48, v134, v135, v48                            // 00000002639C: D1D30030 04C30F86
	v_max3_f32 v48, v136, v137, v48                            // 0000000263A4: D1D30030 04C31388
	v_max3_f32 v48, v138, v139, v48                            // 0000000263AC: D1D30030 04C3178A
	v_max3_f32 v48, v140, v141, v48                            // 0000000263B4: D1D30030 04C31B8C
	v_max3_f32 v48, v142, v143, v48                            // 0000000263BC: D1D30030 04C31F8E
	ds_write_b32 v8, v48 offset:16896                          // 0000000263C4: D81A4200 00003008
	v_mul_f32_e32 v216, v50, v216                              // 0000000263CC: 0BB1B132
	v_mul_f32_e32 v217, v50, v217                              // 0000000263D0: 0BB3B332
	v_mul_f32_e32 v218, v50, v218                              // 0000000263D4: 0BB5B532
	v_mul_f32_e32 v219, v50, v219                              // 0000000263D8: 0BB7B732
	v_mul_f32_e32 v220, v50, v220                              // 0000000263DC: 0BB9B932
	v_mul_f32_e32 v221, v50, v221                              // 0000000263E0: 0BBBBB32
	v_mul_f32_e32 v222, v50, v222                              // 0000000263E4: 0BBDBD32
	v_mul_f32_e32 v223, v50, v223                              // 0000000263E8: 0BBFBF32
	s_waitcnt lgkmcnt(0)                                       // 0000000263EC: BF8CC07F
	s_barrier                                                  // 0000000263F0: BF8A0000
	ds_read_b32 v64, v7 offset:16896                           // 0000000263F4: D86C4200 40000007
	ds_read_b32 v65, v7 offset:16960                           // 0000000263FC: D86C4240 41000007
	ds_read_b32 v66, v7 offset:17024                           // 000000026404: D86C4280 42000007
	ds_read_b32 v67, v7 offset:17088                           // 00000002640C: D86C42C0 43000007
	ds_read_b32 v68, v7 offset:17152                           // 000000026414: D86C4300 44000007
	ds_read_b32 v69, v7 offset:17216                           // 00000002641C: D86C4340 45000007
	ds_read_b32 v70, v7 offset:17280                           // 000000026424: D86C4380 46000007
	ds_read_b32 v71, v7 offset:17344                           // 00000002642C: D86C43C0 47000007
	ds_read_b32 v72, v7 offset:17408                           // 000000026434: D86C4400 48000007
	ds_read_b32 v73, v7 offset:17472                           // 00000002643C: D86C4440 49000007
	ds_read_b32 v74, v7 offset:17536                           // 000000026444: D86C4480 4A000007
	ds_read_b32 v75, v7 offset:17600                           // 00000002644C: D86C44C0 4B000007
	ds_read_b32 v76, v7 offset:17664                           // 000000026454: D86C4500 4C000007
	ds_read_b32 v77, v7 offset:17728                           // 00000002645C: D86C4540 4D000007
	ds_read_b32 v78, v7 offset:17792                           // 000000026464: D86C4580 4E000007
	ds_read_b32 v79, v7 offset:17856                           // 00000002646C: D86C45C0 4F000007
	v_mul_f32_e32 v184, v45, v184                              // 000000026474: 0B71712D
	v_mul_f32_e32 v185, v45, v185                              // 000000026478: 0B73732D
	v_mul_f32_e32 v186, v45, v186                              // 00000002647C: 0B75752D
	v_mul_f32_e32 v187, v45, v187                              // 000000026480: 0B77772D
	v_mul_f32_e32 v188, v45, v188                              // 000000026484: 0B79792D
	v_mul_f32_e32 v189, v45, v189                              // 000000026488: 0B7B7B2D
	v_mul_f32_e32 v190, v45, v190                              // 00000002648C: 0B7D7D2D
	v_mul_f32_e32 v191, v45, v191                              // 000000026490: 0B7F7F2D
	s_waitcnt lgkmcnt(0)                                       // 000000026494: BF8CC07F
	v_max3_f32 v48, v64, v65, v48                              // 000000026498: D1D30030 04C28340
	v_max3_f32 v48, v66, v67, v48                              // 0000000264A0: D1D30030 04C28742
	v_max3_f32 v48, v68, v69, v48                              // 0000000264A8: D1D30030 04C28B44
	v_max3_f32 v48, v70, v71, v48                              // 0000000264B0: D1D30030 04C28F46
	v_max3_f32 v48, v72, v73, v48                              // 0000000264B8: D1D30030 04C29348
	v_max3_f32 v48, v74, v75, v48                              // 0000000264C0: D1D30030 04C2974A
	v_max3_f32 v48, v76, v77, v48                              // 0000000264C8: D1D30030 04C29B4C
	v_max3_f32 v48, v78, v79, v48                              // 0000000264D0: D1D30030 04C29F4E
	v_mov_b32_e32 v64, 0xff800000                              // 0000000264D8: 7E8002FF FF800000
	v_cmp_eq_u32_e64 s[40:41], v64, v12                        // 0000000264E0: D0CA0028 00021940
	s_nop 1                                                    // 0000000264E8: BF800001
	v_max_f32_e32 v15, v48, v12                                // 0000000264EC: 161E1930
	v_mul_f32_e32 v53, s64, v15                                // 0000000264F0: 0A6A1E40
	v_fma_f32 v128, v128, s64, -v53                            // 0000000264F4: D1CB0080 84D48180
	v_fma_f32 v129, v129, s64, -v53                            // 0000000264FC: D1CB0081 84D48181
	v_fma_f32 v130, v130, s64, -v53                            // 000000026504: D1CB0082 84D48182
	v_fma_f32 v131, v131, s64, -v53                            // 00000002650C: D1CB0083 84D48183
	v_fma_f32 v132, v132, s64, -v53                            // 000000026514: D1CB0084 84D48184
	v_fma_f32 v133, v133, s64, -v53                            // 00000002651C: D1CB0085 84D48185
	v_fma_f32 v134, v134, s64, -v53                            // 000000026524: D1CB0086 84D48186
	v_fma_f32 v135, v135, s64, -v53                            // 00000002652C: D1CB0087 84D48187
	v_fma_f32 v136, v136, s64, -v53                            // 000000026534: D1CB0088 84D48188
	v_fma_f32 v137, v137, s64, -v53                            // 00000002653C: D1CB0089 84D48189
	v_fma_f32 v138, v138, s64, -v53                            // 000000026544: D1CB008A 84D4818A
	v_fma_f32 v139, v139, s64, -v53                            // 00000002654C: D1CB008B 84D4818B
	v_fma_f32 v140, v140, s64, -v53                            // 000000026554: D1CB008C 84D4818C
	v_fma_f32 v141, v141, s64, -v53                            // 00000002655C: D1CB008D 84D4818D
	v_fma_f32 v142, v142, s64, -v53                            // 000000026564: D1CB008E 84D4818E
	v_fma_f32 v143, v143, s64, -v53                            // 00000002656C: D1CB008F 84D4818F
	v_exp_f32_e32 v128, v128                                   // 000000026574: 7F004180
	v_exp_f32_e32 v129, v129                                   // 000000026578: 7F024181
	v_exp_f32_e32 v130, v130                                   // 00000002657C: 7F044182
	v_exp_f32_e32 v131, v131                                   // 000000026580: 7F064183
	v_exp_f32_e32 v132, v132                                   // 000000026584: 7F084184
	v_exp_f32_e32 v133, v133                                   // 000000026588: 7F0A4185
	v_exp_f32_e32 v134, v134                                   // 00000002658C: 7F0C4186
	v_exp_f32_e32 v135, v135                                   // 000000026590: 7F0E4187
	v_exp_f32_e32 v136, v136                                   // 000000026594: 7F104188
	v_exp_f32_e32 v137, v137                                   // 000000026598: 7F124189
	v_exp_f32_e32 v138, v138                                   // 00000002659C: 7F14418A
	v_exp_f32_e32 v139, v139                                   // 0000000265A0: 7F16418B
	v_exp_f32_e32 v140, v140                                   // 0000000265A4: 7F18418C
	v_exp_f32_e32 v141, v141                                   // 0000000265A8: 7F1A418D
	v_exp_f32_e32 v142, v142                                   // 0000000265AC: 7F1C418E
	v_exp_f32_e32 v143, v143                                   // 0000000265B0: 7F1E418F
	v_mul_f32_dpp v240, v252, v128 quad_perm:[0,0,0,0] row_mask:0xf bank_mask:0xf// 0000000265B4: 0BE100FA FF0000FC
	v_mul_f32_dpp v241, v252, v129 quad_perm:[1,1,1,1] row_mask:0xf bank_mask:0xf// 0000000265BC: 0BE302FA FF0055FC
	v_mul_f32_dpp v242, v252, v130 quad_perm:[2,2,2,2] row_mask:0xf bank_mask:0xf// 0000000265C4: 0BE504FA FF00AAFC
	v_mul_f32_dpp v243, v252, v131 quad_perm:[3,3,3,3] row_mask:0xf bank_mask:0xf// 0000000265CC: 0BE706FA FF00FFFC
	v_mul_f32_dpp v244, v253, v132 quad_perm:[0,0,0,0] row_mask:0xf bank_mask:0xf// 0000000265D4: 0BE908FA FF0000FD
	v_mul_f32_dpp v245, v253, v133 quad_perm:[1,1,1,1] row_mask:0xf bank_mask:0xf// 0000000265DC: 0BEB0AFA FF0055FD
	v_mul_f32_dpp v246, v253, v134 quad_perm:[2,2,2,2] row_mask:0xf bank_mask:0xf// 0000000265E4: 0BED0CFA FF00AAFD
	v_mul_f32_dpp v247, v253, v135 quad_perm:[3,3,3,3] row_mask:0xf bank_mask:0xf// 0000000265EC: 0BEF0EFA FF00FFFD
	v_mul_f32_dpp v248, v254, v136 quad_perm:[0,0,0,0] row_mask:0xf bank_mask:0xf// 0000000265F4: 0BF110FA FF0000FE
	v_mul_f32_dpp v249, v254, v137 quad_perm:[1,1,1,1] row_mask:0xf bank_mask:0xf// 0000000265FC: 0BF312FA FF0055FE
	v_mul_f32_dpp v250, v254, v138 quad_perm:[2,2,2,2] row_mask:0xf bank_mask:0xf// 000000026604: 0BF514FA FF00AAFE
	v_mul_f32_dpp v251, v254, v139 quad_perm:[3,3,3,3] row_mask:0xf bank_mask:0xf// 00000002660C: 0BF716FA FF00FFFE
	v_mul_f32_dpp v252, v255, v140 quad_perm:[0,0,0,0] row_mask:0xf bank_mask:0xf// 000000026614: 0BF918FA FF0000FF
	v_mul_f32_dpp v253, v255, v141 quad_perm:[1,1,1,1] row_mask:0xf bank_mask:0xf// 00000002661C: 0BFB1AFA FF0055FF
	v_mul_f32_dpp v254, v255, v142 quad_perm:[2,2,2,2] row_mask:0xf bank_mask:0xf// 000000026624: 0BFD1CFA FF00AAFF
	v_mul_f32_dpp v255, v255, v143 quad_perm:[3,3,3,3] row_mask:0xf bank_mask:0xf// 00000002662C: 0BFF1EFA FF00FFFF
	v_mov_b32_e32 v48, 0x358637bd                              // 000000026634: 7E6002FF 358637BD
	v_max3_f32 v48, |v240|, |v241|, v48                        // 00000002663C: D1D30330 04C3E3F0
	v_max3_f32 v48, |v242|, |v243|, v48                        // 000000026644: D1D30330 04C3E7F2
	v_max3_f32 v48, |v244|, |v245|, v48                        // 00000002664C: D1D30330 04C3EBF4
	v_max3_f32 v48, |v246|, |v247|, v48                        // 000000026654: D1D30330 04C3EFF6
	v_max3_f32 v48, |v248|, |v249|, v48                        // 00000002665C: D1D30330 04C3F3F8
	v_max3_f32 v48, |v250|, |v251|, v48                        // 000000026664: D1D30330 04C3F7FA
	v_max3_f32 v48, |v252|, |v253|, v48                        // 00000002666C: D1D30330 04C3FBFC
	v_max3_f32 v48, |v254|, |v255|, v48                        // 000000026674: D1D30330 04C3FFFE
	ds_write_b32 v8, v48 offset:20992                          // 00000002667C: D81A5200 00003008
	v_sub_f32_e32 v50, v12, v15                                // 000000026684: 04641F0C
	v_cndmask_b32_e64 v50, v50, 0, s[40:41]                    // 000000026688: D1000032 00A10132
	v_mov_b32_e32 v12, v15                                     // 000000026690: 7E18030F
	v_mul_f32_e32 v50, s64, v50                                // 000000026694: 0A646440
	v_exp_f32_e32 v50, v50                                     // 000000026698: 7E644132
	s_waitcnt lgkmcnt(0)                                       // 00000002669C: BF8CC07F
	s_barrier                                                  // 0000000266A0: BF8A0000
	ds_read_b32 v64, v7 offset:20992                           // 0000000266A4: D86C5200 40000007
	ds_read_b32 v65, v7 offset:21056                           // 0000000266AC: D86C5240 41000007
	ds_read_b32 v66, v7 offset:21120                           // 0000000266B4: D86C5280 42000007
	ds_read_b32 v67, v7 offset:21184                           // 0000000266BC: D86C52C0 43000007
	ds_read_b32 v68, v7 offset:21248                           // 0000000266C4: D86C5300 44000007
	ds_read_b32 v69, v7 offset:21312                           // 0000000266CC: D86C5340 45000007
	ds_read_b32 v70, v7 offset:21376                           // 0000000266D4: D86C5380 46000007
	ds_read_b32 v71, v7 offset:21440                           // 0000000266DC: D86C53C0 47000007
	ds_read_b32 v72, v7 offset:21504                           // 0000000266E4: D86C5400 48000007
	ds_read_b32 v73, v7 offset:21568                           // 0000000266EC: D86C5440 49000007
	ds_read_b32 v74, v7 offset:21632                           // 0000000266F4: D86C5480 4A000007
	ds_read_b32 v75, v7 offset:21696                           // 0000000266FC: D86C54C0 4B000007
	ds_read_b32 v76, v7 offset:21760                           // 000000026704: D86C5500 4C000007
	ds_read_b32 v77, v7 offset:21824                           // 00000002670C: D86C5540 4D000007
	ds_read_b32 v78, v7 offset:21888                           // 000000026714: D86C5580 4E000007
	ds_read_b32 v79, v7 offset:21952                           // 00000002671C: D86C55C0 4F000007
	v_mul_f32_e32 v39, v50, v39                                // 000000026724: 0A4E4F32
	v_mov_b32_e32 v15, v128                                    // 000000026728: 7E1E0380
	v_add_f32_e32 v15, v129, v15                               // 00000002672C: 021E1F81
	v_add_f32_e32 v15, v130, v15                               // 000000026730: 021E1F82
	v_add_f32_e32 v15, v131, v15                               // 000000026734: 021E1F83
	v_add_f32_e32 v15, v132, v15                               // 000000026738: 021E1F84
	v_add_f32_e32 v15, v133, v15                               // 00000002673C: 021E1F85
	v_add_f32_e32 v15, v134, v15                               // 000000026740: 021E1F86
	v_add_f32_e32 v15, v135, v15                               // 000000026744: 021E1F87
	v_add_f32_e32 v15, v136, v15                               // 000000026748: 021E1F88
	v_add_f32_e32 v15, v137, v15                               // 00000002674C: 021E1F89
	v_add_f32_e32 v15, v138, v15                               // 000000026750: 021E1F8A
	v_add_f32_e32 v15, v139, v15                               // 000000026754: 021E1F8B
	v_add_f32_e32 v15, v140, v15                               // 000000026758: 021E1F8C
	v_add_f32_e32 v15, v141, v15                               // 00000002675C: 021E1F8D
	v_add_f32_e32 v15, v142, v15                               // 000000026760: 021E1F8E
	v_add_f32_e32 v15, v143, v15                               // 000000026764: 021E1F8F
	v_add_f32_e32 v39, v15, v39                                // 000000026768: 024E4F0F
	s_waitcnt lgkmcnt(0)                                       // 00000002676C: BF8CC07F
	v_max3_f32 v48, |v64|, |v65|, v48                          // 000000026770: D1D30330 04C28340
	v_max3_f32 v48, |v66|, |v67|, v48                          // 000000026778: D1D30330 04C28742
	v_max3_f32 v48, |v68|, |v69|, v48                          // 000000026780: D1D30330 04C28B44
	v_max3_f32 v48, |v70|, |v71|, v48                          // 000000026788: D1D30330 04C28F46
	v_max3_f32 v48, |v72|, |v73|, v48                          // 000000026790: D1D30330 04C29348
	v_max3_f32 v48, |v74|, |v75|, v48                          // 000000026798: D1D30330 04C2974A
	v_max3_f32 v48, |v76|, |v77|, v48                          // 0000000267A0: D1D30330 04C29B4C
	v_max3_f32 v48, |v78|, |v79|, v48                          // 0000000267A8: D1D30330 04C29F4E
	s_nop 2                                                    // 0000000267B0: BF800002
	v_rcp_f32_e32 v48, v48                                     // 0000000267B4: 7E604530
	s_nop 1                                                    // 0000000267B8: BF800001
	v_mul_f32_e32 v48, 0x43700000, v48                         // 0000000267BC: 0A6060FF 43700000
	v_mul_f32_e32 v128, v48, v240                              // 0000000267C4: 0B01E130
	v_mul_f32_e32 v129, v48, v241                              // 0000000267C8: 0B03E330
	v_mul_f32_e32 v130, v48, v242                              // 0000000267CC: 0B05E530
	v_mul_f32_e32 v131, v48, v243                              // 0000000267D0: 0B07E730
	v_mul_f32_e32 v132, v48, v244                              // 0000000267D4: 0B09E930
	v_mul_f32_e32 v133, v48, v245                              // 0000000267D8: 0B0BEB30
	v_mul_f32_e32 v134, v48, v246                              // 0000000267DC: 0B0DED30
	v_mul_f32_e32 v135, v48, v247                              // 0000000267E0: 0B0FEF30
	v_mul_f32_e32 v136, v48, v248                              // 0000000267E4: 0B11F130
	v_mul_f32_e32 v137, v48, v249                              // 0000000267E8: 0B13F330
	v_mul_f32_e32 v138, v48, v250                              // 0000000267EC: 0B15F530
	v_mul_f32_e32 v139, v48, v251                              // 0000000267F0: 0B17F730
	v_mul_f32_e32 v140, v48, v252                              // 0000000267F4: 0B19F930
	v_mul_f32_e32 v141, v48, v253                              // 0000000267F8: 0B1BFB30
	v_mul_f32_e32 v142, v48, v254                              // 0000000267FC: 0B1DFD30
	v_mul_f32_e32 v143, v48, v255                              // 000000026800: 0B1FFF30
	v_cvt_pk_fp8_f32 v128, v128, v129                          // 000000026804: D2A20080 00030380
	v_cvt_pk_fp8_f32 v128, v130, v131 op_sel:[0,0,1]           // 00000002680C: D2A24080 00030782
	v_cvt_pk_fp8_f32 v129, v132, v133                          // 000000026814: D2A20081 00030B84
	v_cvt_pk_fp8_f32 v129, v134, v135 op_sel:[0,0,1]           // 00000002681C: D2A24081 00030F86
	v_cvt_pk_fp8_f32 v130, v136, v137                          // 000000026824: D2A20082 00031388
	v_cvt_pk_fp8_f32 v130, v138, v139 op_sel:[0,0,1]           // 00000002682C: D2A24082 0003178A
	v_cvt_pk_fp8_f32 v131, v140, v141                          // 000000026834: D2A20083 00031B8C
	v_cvt_pk_fp8_f32 v131, v142, v143 op_sel:[0,0,1]           // 00000002683C: D2A24083 00031F8E
	ds_write_b32 v10, v128 offset:29184                        // 000000026844: D81A7200 0000800A
	ds_write_b32 v10, v129 offset:30208                        // 00000002684C: D81A7600 0000810A
	ds_write_b32 v10, v130 offset:31232                        // 000000026854: D81A7A00 0000820A
	ds_write_b32 v10, v131 offset:32256                        // 00000002685C: D81A7E00 0000830A
	v_add_f32_e32 v216, v216, v184                             // 000000026864: 03B171D8
	v_add_f32_e32 v217, v217, v185                             // 000000026868: 03B373D9
	v_add_f32_e32 v218, v218, v186                             // 00000002686C: 03B575DA
	v_add_f32_e32 v219, v219, v187                             // 000000026870: 03B777DB
	v_add_f32_e32 v220, v220, v188                             // 000000026874: 03B979DC
	v_add_f32_e32 v221, v221, v189                             // 000000026878: 03BB7BDD
	v_add_f32_e32 v222, v222, v190                             // 00000002687C: 03BD7DDE
	v_add_f32_e32 v223, v223, v191                             // 000000026880: 03BF7FDF
	v_rcp_f32_e32 v45, v48                                     // 000000026884: 7E5A4530
	s_waitcnt lgkmcnt(0)                                       // 000000026888: BF8CC07F
	s_barrier                                                  // 00000002688C: BF8A0000
	ds_read_b64 v[128:129], v9 offset:29184                    // 000000026890: D8EC7200 80000009
	ds_read_b64 v[130:131], v9 offset:29312                    // 000000026898: D8EC7280 82000009
	ds_read_b64 v[132:133], v9 offset:30208                    // 0000000268A0: D8EC7600 84000009
	ds_read_b64 v[134:135], v9 offset:30336                    // 0000000268A8: D8EC7680 86000009
	ds_read_b64 v[136:137], v9 offset:31232                    // 0000000268B0: D8EC7A00 88000009
	ds_read_b64 v[138:139], v9 offset:31360                    // 0000000268B8: D8EC7A80 8A000009
	ds_read_b64 v[140:141], v9 offset:32256                    // 0000000268C0: D8EC7E00 8C000009
	ds_read_b64 v[142:143], v9 offset:32384                    // 0000000268C8: D8EC7E80 8E000009
	v_mov_b32_dpp v64, v43 row_shr:4 row_mask:0xf bank_mask:0xf// 0000000268D0: 7E8002FA FF01142B
	v_mov_b32_dpp v65, v43 row_shl:4 row_mask:0xf bank_mask:0xf// 0000000268D8: 7E8202FA FF01042B
	v_cndmask_b32_e64 v248, v43, v64, s[44:45]                 // 0000000268E0: D10000F8 00B2812B
	v_cndmask_b32_e64 v249, v65, v43, s[44:45]                 // 0000000268E8: D10000F9 00B25741
	v_mov_b32_dpp v64, v248 row_shr:8 row_mask:0xf bank_mask:0xf// 0000000268F0: 7E8002FA FF0118F8
	v_mov_b32_dpp v65, v248 row_shl:8 row_mask:0xf bank_mask:0xf// 0000000268F8: 7E8202FA FF0108F8
	v_mov_b32_dpp v66, v249 row_shr:8 row_mask:0xf bank_mask:0xf// 000000026900: 7E8402FA FF0118F9
	v_mov_b32_dpp v67, v249 row_shl:8 row_mask:0xf bank_mask:0xf// 000000026908: 7E8602FA FF0108F9
	v_mov_b32_e32 v68, v248                                    // 000000026910: 7E8803F8
	v_mov_b32_e32 v69, v249                                    // 000000026914: 7E8A03F9
	v_cndmask_b32_e64 v248, v68, v64, s[42:43]                 // 000000026918: D10000F8 00AA8144
	v_cndmask_b32_e64 v250, v68, v65, s[78:79]                 // 000000026920: D10000FA 013A8344
	v_cndmask_b32_e64 v249, v69, v66, s[42:43]                 // 000000026928: D10000F9 00AA8545
	v_cndmask_b32_e64 v251, v69, v67, s[78:79]                 // 000000026930: D10000FB 013A8745
	v_mov_b32_dpp v64, v58 row_shr:4 row_mask:0xf bank_mask:0xf// 000000026938: 7E8002FA FF01143A
	v_mov_b32_dpp v65, v58 row_shl:4 row_mask:0xf bank_mask:0xf// 000000026940: 7E8202FA FF01043A
	v_cndmask_b32_e64 v252, v58, v64, s[44:45]                 // 000000026948: D10000FC 00B2813A
	v_cndmask_b32_e64 v253, v65, v58, s[44:45]                 // 000000026950: D10000FD 00B27541
	v_mov_b32_dpp v64, v252 row_shr:8 row_mask:0xf bank_mask:0xf// 000000026958: 7E8002FA FF0118FC
	v_mov_b32_dpp v65, v252 row_shl:8 row_mask:0xf bank_mask:0xf// 000000026960: 7E8202FA FF0108FC
	v_mov_b32_dpp v66, v253 row_shr:8 row_mask:0xf bank_mask:0xf// 000000026968: 7E8402FA FF0118FD
	v_mov_b32_dpp v67, v253 row_shl:8 row_mask:0xf bank_mask:0xf// 000000026970: 7E8602FA FF0108FD
	v_mov_b32_e32 v68, v252                                    // 000000026978: 7E8803FC
	v_mov_b32_e32 v69, v253                                    // 00000002697C: 7E8A03FD
	v_cndmask_b32_e64 v252, v68, v64, s[42:43]                 // 000000026980: D10000FC 00AA8144
	v_cndmask_b32_e64 v254, v68, v65, s[78:79]                 // 000000026988: D10000FE 013A8344
	v_cndmask_b32_e64 v253, v69, v66, s[42:43]                 // 000000026990: D10000FD 00AA8545
	v_cndmask_b32_e64 v255, v69, v67, s[78:79]                 // 000000026998: D10000FF 013A8745
	v_mul_f32_e32 v144, v20, v144                              // 0000000269A0: 0B212114
	v_mul_f32_e32 v145, v20, v145                              // 0000000269A4: 0B232314
	v_mul_f32_e32 v146, v20, v146                              // 0000000269A8: 0B252514
	v_mul_f32_e32 v147, v20, v147                              // 0000000269AC: 0B272714
	v_mul_f32_e32 v148, v20, v148                              // 0000000269B0: 0B292914
	v_mul_f32_e32 v149, v20, v149                              // 0000000269B4: 0B2B2B14
	v_mul_f32_e32 v150, v20, v150                              // 0000000269B8: 0B2D2D14
	v_mul_f32_e32 v151, v20, v151                              // 0000000269BC: 0B2F2F14
	v_mul_f32_e32 v152, v20, v152                              // 0000000269C0: 0B313114
	v_mul_f32_e32 v153, v20, v153                              // 0000000269C4: 0B333314
	v_mul_f32_e32 v154, v20, v154                              // 0000000269C8: 0B353514
	v_mul_f32_e32 v155, v20, v155                              // 0000000269CC: 0B373714
	v_mul_f32_e32 v156, v20, v156                              // 0000000269D0: 0B393914
	v_mul_f32_e32 v157, v20, v157                              // 0000000269D4: 0B3B3B14
	v_mul_f32_e32 v158, v20, v158                              // 0000000269D8: 0B3D3D14
	v_mul_f32_e32 v159, v20, v159                              // 0000000269DC: 0B3F3F14
	v_mul_f32_dpp v144, v248, v144 quad_perm:[0,0,0,0] row_mask:0xf bank_mask:0xf// 0000000269E0: 0B2120FA FF0000F8
	v_mul_f32_dpp v145, v248, v145 quad_perm:[1,1,1,1] row_mask:0xf bank_mask:0xf// 0000000269E8: 0B2322FA FF0055F8
	v_mul_f32_dpp v146, v248, v146 quad_perm:[2,2,2,2] row_mask:0xf bank_mask:0xf// 0000000269F0: 0B2524FA FF00AAF8
	v_mul_f32_dpp v147, v248, v147 quad_perm:[3,3,3,3] row_mask:0xf bank_mask:0xf// 0000000269F8: 0B2726FA FF00FFF8
	v_mul_f32_dpp v148, v249, v148 quad_perm:[0,0,0,0] row_mask:0xf bank_mask:0xf// 000000026A00: 0B2928FA FF0000F9
	v_mul_f32_dpp v149, v249, v149 quad_perm:[1,1,1,1] row_mask:0xf bank_mask:0xf// 000000026A08: 0B2B2AFA FF0055F9
	v_mul_f32_dpp v150, v249, v150 quad_perm:[2,2,2,2] row_mask:0xf bank_mask:0xf// 000000026A10: 0B2D2CFA FF00AAF9
	v_mul_f32_dpp v151, v249, v151 quad_perm:[3,3,3,3] row_mask:0xf bank_mask:0xf// 000000026A18: 0B2F2EFA FF00FFF9
	v_mul_f32_dpp v152, v250, v152 quad_perm:[0,0,0,0] row_mask:0xf bank_mask:0xf// 000000026A20: 0B3130FA FF0000FA
	v_mul_f32_dpp v153, v250, v153 quad_perm:[1,1,1,1] row_mask:0xf bank_mask:0xf// 000000026A28: 0B3332FA FF0055FA
	v_mul_f32_dpp v154, v250, v154 quad_perm:[2,2,2,2] row_mask:0xf bank_mask:0xf// 000000026A30: 0B3534FA FF00AAFA
	v_mul_f32_dpp v155, v250, v155 quad_perm:[3,3,3,3] row_mask:0xf bank_mask:0xf// 000000026A38: 0B3736FA FF00FFFA
	v_mul_f32_dpp v156, v251, v156 quad_perm:[0,0,0,0] row_mask:0xf bank_mask:0xf// 000000026A40: 0B3938FA FF0000FB
	v_mul_f32_dpp v157, v251, v157 quad_perm:[1,1,1,1] row_mask:0xf bank_mask:0xf// 000000026A48: 0B3B3AFA FF0055FB
	v_mul_f32_dpp v158, v251, v158 quad_perm:[2,2,2,2] row_mask:0xf bank_mask:0xf// 000000026A50: 0B3D3CFA FF00AAFB
	v_mul_f32_dpp v159, v251, v159 quad_perm:[3,3,3,3] row_mask:0xf bank_mask:0xf// 000000026A58: 0B3F3EFA FF00FFFB
	s_cmp_le_i32 s90, s89                                      // 000000026A60: BF05595A
	s_cbranch_scc1 label_928B                                  // 000000026A64: BF850071
	v_mov_b32_e32 v66, 0xff800000                              // 000000026A68: 7E8402FF FF800000
	s_mov_b32 s60, s90                                         // 000000026A70: BEBC005A
	s_add_u32 s61, s89, 0xff                                   // 000000026A74: 803DFF59 000000FF
	v_mov_b32_e32 v64, s61                                     // 000000026A7C: 7E80023D
	v_lshrrev_b32_e32 v240, 4, v0                              // 000000026A80: 21E00084
	v_mul_i32_i24_e32 v240, 4, v240                            // 000000026A84: 0DE1E084
	v_add_u32_e32 v240, s60, v240                              // 000000026A88: 69E1E03C
	s_mov_b32 s61, 2                                           // 000000026A8C: BEBD0082
	s_mul_i32 s60, 16, s7                                      // 000000026A90: 923C0790
	v_sub_u32_e64 v240, v240, s61                              // 000000026A94: D13500F0 00007BF0
	v_add_u32_e32 v240, s60, v240                              // 000000026A9C: 69E1E03C
	v_add_u32_e32 v241, 1, v240                                // 000000026AA0: 69E3E081
	v_add_u32_e32 v242, 2, v240                                // 000000026AA4: 69E5E082
	v_add_u32_e32 v243, 3, v240                                // 000000026AA8: 69E7E083
	v_cmp_le_u32_e64 s[40:41], v240, v64                       // 000000026AAC: D0CB0028 000281F0
	v_add_u32_e32 v240, 64, v240                               // 000000026AB4: 69E1E0C0
	s_nop 0                                                    // 000000026AB8: BF800000
	v_cndmask_b32_e64 v144, v66, v144, s[40:41]                // 000000026ABC: D1000090 00A32142
	v_cmp_le_u32_e64 s[40:41], v241, v64                       // 000000026AC4: D0CB0028 000281F1
	v_add_u32_e32 v241, 64, v241                               // 000000026ACC: 69E3E2C0
	s_nop 0                                                    // 000000026AD0: BF800000
	v_cndmask_b32_e64 v145, v66, v145, s[40:41]                // 000000026AD4: D1000091 00A32342
	v_cmp_le_u32_e64 s[40:41], v242, v64                       // 000000026ADC: D0CB0028 000281F2
	v_add_u32_e32 v242, 64, v242                               // 000000026AE4: 69E5E4C0
	s_nop 0                                                    // 000000026AE8: BF800000
	v_cndmask_b32_e64 v146, v66, v146, s[40:41]                // 000000026AEC: D1000092 00A32542
	v_cmp_le_u32_e64 s[40:41], v243, v64                       // 000000026AF4: D0CB0028 000281F3
	v_add_u32_e32 v243, 64, v243                               // 000000026AFC: 69E7E6C0
	s_nop 0                                                    // 000000026B00: BF800000
	v_cndmask_b32_e64 v147, v66, v147, s[40:41]                // 000000026B04: D1000093 00A32742
	v_cmp_le_u32_e64 s[40:41], v240, v64                       // 000000026B0C: D0CB0028 000281F0
	v_add_u32_e32 v240, 64, v240                               // 000000026B14: 69E1E0C0
	s_nop 0                                                    // 000000026B18: BF800000
	v_cndmask_b32_e64 v148, v66, v148, s[40:41]                // 000000026B1C: D1000094 00A32942
	v_cmp_le_u32_e64 s[40:41], v241, v64                       // 000000026B24: D0CB0028 000281F1
	v_add_u32_e32 v241, 64, v241                               // 000000026B2C: 69E3E2C0
	s_nop 0                                                    // 000000026B30: BF800000
	v_cndmask_b32_e64 v149, v66, v149, s[40:41]                // 000000026B34: D1000095 00A32B42
	v_cmp_le_u32_e64 s[40:41], v242, v64                       // 000000026B3C: D0CB0028 000281F2
	v_add_u32_e32 v242, 64, v242                               // 000000026B44: 69E5E4C0
	s_nop 0                                                    // 000000026B48: BF800000
	v_cndmask_b32_e64 v150, v66, v150, s[40:41]                // 000000026B4C: D1000096 00A32D42
	v_cmp_le_u32_e64 s[40:41], v243, v64                       // 000000026B54: D0CB0028 000281F3
	v_add_u32_e32 v243, 64, v243                               // 000000026B5C: 69E7E6C0
	s_nop 0                                                    // 000000026B60: BF800000
	v_cndmask_b32_e64 v151, v66, v151, s[40:41]                // 000000026B64: D1000097 00A32F42
	v_cmp_le_u32_e64 s[40:41], v240, v64                       // 000000026B6C: D0CB0028 000281F0
	v_add_u32_e32 v240, 64, v240                               // 000000026B74: 69E1E0C0
	s_nop 0                                                    // 000000026B78: BF800000
	v_cndmask_b32_e64 v152, v66, v152, s[40:41]                // 000000026B7C: D1000098 00A33142
	v_cmp_le_u32_e64 s[40:41], v241, v64                       // 000000026B84: D0CB0028 000281F1
	v_add_u32_e32 v241, 64, v241                               // 000000026B8C: 69E3E2C0
	s_nop 0                                                    // 000000026B90: BF800000
	v_cndmask_b32_e64 v153, v66, v153, s[40:41]                // 000000026B94: D1000099 00A33342
	v_cmp_le_u32_e64 s[40:41], v242, v64                       // 000000026B9C: D0CB0028 000281F2
	v_add_u32_e32 v242, 64, v242                               // 000000026BA4: 69E5E4C0
	s_nop 0                                                    // 000000026BA8: BF800000
	v_cndmask_b32_e64 v154, v66, v154, s[40:41]                // 000000026BAC: D100009A 00A33542
	v_cmp_le_u32_e64 s[40:41], v243, v64                       // 000000026BB4: D0CB0028 000281F3
	v_add_u32_e32 v243, 64, v243                               // 000000026BBC: 69E7E6C0
	s_nop 0                                                    // 000000026BC0: BF800000
	v_cndmask_b32_e64 v155, v66, v155, s[40:41]                // 000000026BC4: D100009B 00A33742
	v_cmp_le_u32_e64 s[40:41], v240, v64                       // 000000026BCC: D0CB0028 000281F0
	v_add_u32_e32 v240, 64, v240                               // 000000026BD4: 69E1E0C0
	s_nop 0                                                    // 000000026BD8: BF800000
	v_cndmask_b32_e64 v156, v66, v156, s[40:41]                // 000000026BDC: D100009C 00A33942
	v_cmp_le_u32_e64 s[40:41], v241, v64                       // 000000026BE4: D0CB0028 000281F1
	v_add_u32_e32 v241, 64, v241                               // 000000026BEC: 69E3E2C0
	s_nop 0                                                    // 000000026BF0: BF800000
	v_cndmask_b32_e64 v157, v66, v157, s[40:41]                // 000000026BF4: D100009D 00A33B42
	v_cmp_le_u32_e64 s[40:41], v242, v64                       // 000000026BFC: D0CB0028 000281F2
	v_add_u32_e32 v242, 64, v242                               // 000000026C04: 69E5E4C0
	s_nop 0                                                    // 000000026C08: BF800000
	v_cndmask_b32_e64 v158, v66, v158, s[40:41]                // 000000026C0C: D100009E 00A33D42
	v_cmp_le_u32_e64 s[40:41], v243, v64                       // 000000026C14: D0CB0028 000281F3
	v_add_u32_e32 v243, 64, v243                               // 000000026C1C: 69E7E6C0
	s_nop 0                                                    // 000000026C20: BF800000
	v_cndmask_b32_e64 v159, v66, v159, s[40:41]                // 000000026C24: D100009F 00A33F42

0000000000026c2c <label_928B>:
	v_mov_b32_e32 v48, v144                                    // 000000026C2C: 7E600390
	v_max3_f32 v48, v144, v145, v48                            // 000000026C30: D1D30030 04C32390
	v_max3_f32 v48, v146, v147, v48                            // 000000026C38: D1D30030 04C32792
	v_max3_f32 v48, v148, v149, v48                            // 000000026C40: D1D30030 04C32B94
	v_max3_f32 v48, v150, v151, v48                            // 000000026C48: D1D30030 04C32F96
	v_max3_f32 v48, v152, v153, v48                            // 000000026C50: D1D30030 04C33398
	v_max3_f32 v48, v154, v155, v48                            // 000000026C58: D1D30030 04C3379A
	v_max3_f32 v48, v156, v157, v48                            // 000000026C60: D1D30030 04C33B9C
	v_max3_f32 v48, v158, v159, v48                            // 000000026C68: D1D30030 04C33F9E
	ds_write_b32 v8, v48 offset:16896                          // 000000026C70: D81A4200 00003008
	v_mul_f32_e32 v224, v51, v224                              // 000000026C78: 0BC1C133
	v_mul_f32_e32 v225, v51, v225                              // 000000026C7C: 0BC3C333
	v_mul_f32_e32 v226, v51, v226                              // 000000026C80: 0BC5C533
	v_mul_f32_e32 v227, v51, v227                              // 000000026C84: 0BC7C733
	v_mul_f32_e32 v228, v51, v228                              // 000000026C88: 0BC9C933
	v_mul_f32_e32 v229, v51, v229                              // 000000026C8C: 0BCBCB33
	v_mul_f32_e32 v230, v51, v230                              // 000000026C90: 0BCDCD33
	v_mul_f32_e32 v231, v51, v231                              // 000000026C94: 0BCFCF33
	s_waitcnt lgkmcnt(0)                                       // 000000026C98: BF8CC07F
	s_barrier                                                  // 000000026C9C: BF8A0000
	ds_read_b32 v64, v7 offset:16896                           // 000000026CA0: D86C4200 40000007
	ds_read_b32 v65, v7 offset:16960                           // 000000026CA8: D86C4240 41000007
	ds_read_b32 v66, v7 offset:17024                           // 000000026CB0: D86C4280 42000007
	ds_read_b32 v67, v7 offset:17088                           // 000000026CB8: D86C42C0 43000007
	ds_read_b32 v68, v7 offset:17152                           // 000000026CC0: D86C4300 44000007
	ds_read_b32 v69, v7 offset:17216                           // 000000026CC8: D86C4340 45000007
	ds_read_b32 v70, v7 offset:17280                           // 000000026CD0: D86C4380 46000007
	ds_read_b32 v71, v7 offset:17344                           // 000000026CD8: D86C43C0 47000007
	ds_read_b32 v72, v7 offset:17408                           // 000000026CE0: D86C4400 48000007
	ds_read_b32 v73, v7 offset:17472                           // 000000026CE8: D86C4440 49000007
	ds_read_b32 v74, v7 offset:17536                           // 000000026CF0: D86C4480 4A000007
	ds_read_b32 v75, v7 offset:17600                           // 000000026CF8: D86C44C0 4B000007
	ds_read_b32 v76, v7 offset:17664                           // 000000026D00: D86C4500 4C000007
	ds_read_b32 v77, v7 offset:17728                           // 000000026D08: D86C4540 4D000007
	ds_read_b32 v78, v7 offset:17792                           // 000000026D10: D86C4580 4E000007
	ds_read_b32 v79, v7 offset:17856                           // 000000026D18: D86C45C0 4F000007
	v_mul_f32_e32 v192, v46, v192                              // 000000026D20: 0B81812E
	v_mul_f32_e32 v193, v46, v193                              // 000000026D24: 0B83832E
	v_mul_f32_e32 v194, v46, v194                              // 000000026D28: 0B85852E
	v_mul_f32_e32 v195, v46, v195                              // 000000026D2C: 0B87872E
	v_mul_f32_e32 v196, v46, v196                              // 000000026D30: 0B89892E
	v_mul_f32_e32 v197, v46, v197                              // 000000026D34: 0B8B8B2E
	v_mul_f32_e32 v198, v46, v198                              // 000000026D38: 0B8D8D2E
	v_mul_f32_e32 v199, v46, v199                              // 000000026D3C: 0B8F8F2E
	s_waitcnt lgkmcnt(0)                                       // 000000026D40: BF8CC07F
	v_max3_f32 v48, v64, v65, v48                              // 000000026D44: D1D30030 04C28340
	v_max3_f32 v48, v66, v67, v48                              // 000000026D4C: D1D30030 04C28742
	v_max3_f32 v48, v68, v69, v48                              // 000000026D54: D1D30030 04C28B44
	v_max3_f32 v48, v70, v71, v48                              // 000000026D5C: D1D30030 04C28F46
	v_max3_f32 v48, v72, v73, v48                              // 000000026D64: D1D30030 04C29348
	v_max3_f32 v48, v74, v75, v48                              // 000000026D6C: D1D30030 04C2974A
	v_max3_f32 v48, v76, v77, v48                              // 000000026D74: D1D30030 04C29B4C
	v_max3_f32 v48, v78, v79, v48                              // 000000026D7C: D1D30030 04C29F4E
	v_mov_b32_e32 v64, 0xff800000                              // 000000026D84: 7E8002FF FF800000
	v_cmp_eq_u32_e64 s[40:41], v64, v13                        // 000000026D8C: D0CA0028 00021B40
	s_nop 1                                                    // 000000026D94: BF800001
	v_max_f32_e32 v15, v48, v13                                // 000000026D98: 161E1B30
	v_mul_f32_e32 v53, s64, v15                                // 000000026D9C: 0A6A1E40
	v_fma_f32 v144, v144, s64, -v53                            // 000000026DA0: D1CB0090 84D48190
	v_fma_f32 v145, v145, s64, -v53                            // 000000026DA8: D1CB0091 84D48191
	v_fma_f32 v146, v146, s64, -v53                            // 000000026DB0: D1CB0092 84D48192
	v_fma_f32 v147, v147, s64, -v53                            // 000000026DB8: D1CB0093 84D48193
	v_fma_f32 v148, v148, s64, -v53                            // 000000026DC0: D1CB0094 84D48194
	v_fma_f32 v149, v149, s64, -v53                            // 000000026DC8: D1CB0095 84D48195
	v_fma_f32 v150, v150, s64, -v53                            // 000000026DD0: D1CB0096 84D48196
	v_fma_f32 v151, v151, s64, -v53                            // 000000026DD8: D1CB0097 84D48197
	v_fma_f32 v152, v152, s64, -v53                            // 000000026DE0: D1CB0098 84D48198
	v_fma_f32 v153, v153, s64, -v53                            // 000000026DE8: D1CB0099 84D48199
	v_fma_f32 v154, v154, s64, -v53                            // 000000026DF0: D1CB009A 84D4819A
	v_fma_f32 v155, v155, s64, -v53                            // 000000026DF8: D1CB009B 84D4819B
	v_fma_f32 v156, v156, s64, -v53                            // 000000026E00: D1CB009C 84D4819C
	v_fma_f32 v157, v157, s64, -v53                            // 000000026E08: D1CB009D 84D4819D
	v_fma_f32 v158, v158, s64, -v53                            // 000000026E10: D1CB009E 84D4819E
	v_fma_f32 v159, v159, s64, -v53                            // 000000026E18: D1CB009F 84D4819F
	v_exp_f32_e32 v144, v144                                   // 000000026E20: 7F204190
	v_exp_f32_e32 v145, v145                                   // 000000026E24: 7F224191
	v_exp_f32_e32 v146, v146                                   // 000000026E28: 7F244192
	v_exp_f32_e32 v147, v147                                   // 000000026E2C: 7F264193
	v_exp_f32_e32 v148, v148                                   // 000000026E30: 7F284194
	v_exp_f32_e32 v149, v149                                   // 000000026E34: 7F2A4195
	v_exp_f32_e32 v150, v150                                   // 000000026E38: 7F2C4196
	v_exp_f32_e32 v151, v151                                   // 000000026E3C: 7F2E4197
	v_exp_f32_e32 v152, v152                                   // 000000026E40: 7F304198
	v_exp_f32_e32 v153, v153                                   // 000000026E44: 7F324199
	v_exp_f32_e32 v154, v154                                   // 000000026E48: 7F34419A
	v_exp_f32_e32 v155, v155                                   // 000000026E4C: 7F36419B
	v_exp_f32_e32 v156, v156                                   // 000000026E50: 7F38419C
	v_exp_f32_e32 v157, v157                                   // 000000026E54: 7F3A419D
	v_exp_f32_e32 v158, v158                                   // 000000026E58: 7F3C419E
	v_exp_f32_e32 v159, v159                                   // 000000026E5C: 7F3E419F
	v_mul_f32_dpp v240, v252, v144 quad_perm:[0,0,0,0] row_mask:0xf bank_mask:0xf// 000000026E60: 0BE120FA FF0000FC
	v_mul_f32_dpp v241, v252, v145 quad_perm:[1,1,1,1] row_mask:0xf bank_mask:0xf// 000000026E68: 0BE322FA FF0055FC
	v_mul_f32_dpp v242, v252, v146 quad_perm:[2,2,2,2] row_mask:0xf bank_mask:0xf// 000000026E70: 0BE524FA FF00AAFC
	v_mul_f32_dpp v243, v252, v147 quad_perm:[3,3,3,3] row_mask:0xf bank_mask:0xf// 000000026E78: 0BE726FA FF00FFFC
	v_mul_f32_dpp v244, v253, v148 quad_perm:[0,0,0,0] row_mask:0xf bank_mask:0xf// 000000026E80: 0BE928FA FF0000FD
	v_mul_f32_dpp v245, v253, v149 quad_perm:[1,1,1,1] row_mask:0xf bank_mask:0xf// 000000026E88: 0BEB2AFA FF0055FD
	v_mul_f32_dpp v246, v253, v150 quad_perm:[2,2,2,2] row_mask:0xf bank_mask:0xf// 000000026E90: 0BED2CFA FF00AAFD
	v_mul_f32_dpp v247, v253, v151 quad_perm:[3,3,3,3] row_mask:0xf bank_mask:0xf// 000000026E98: 0BEF2EFA FF00FFFD
	v_mul_f32_dpp v248, v254, v152 quad_perm:[0,0,0,0] row_mask:0xf bank_mask:0xf// 000000026EA0: 0BF130FA FF0000FE
	v_mul_f32_dpp v249, v254, v153 quad_perm:[1,1,1,1] row_mask:0xf bank_mask:0xf// 000000026EA8: 0BF332FA FF0055FE
	v_mul_f32_dpp v250, v254, v154 quad_perm:[2,2,2,2] row_mask:0xf bank_mask:0xf// 000000026EB0: 0BF534FA FF00AAFE
	v_mul_f32_dpp v251, v254, v155 quad_perm:[3,3,3,3] row_mask:0xf bank_mask:0xf// 000000026EB8: 0BF736FA FF00FFFE
	v_mul_f32_dpp v252, v255, v156 quad_perm:[0,0,0,0] row_mask:0xf bank_mask:0xf// 000000026EC0: 0BF938FA FF0000FF
	v_mul_f32_dpp v253, v255, v157 quad_perm:[1,1,1,1] row_mask:0xf bank_mask:0xf// 000000026EC8: 0BFB3AFA FF0055FF
	v_mul_f32_dpp v254, v255, v158 quad_perm:[2,2,2,2] row_mask:0xf bank_mask:0xf// 000000026ED0: 0BFD3CFA FF00AAFF
	v_mul_f32_dpp v255, v255, v159 quad_perm:[3,3,3,3] row_mask:0xf bank_mask:0xf// 000000026ED8: 0BFF3EFA FF00FFFF
	v_mov_b32_e32 v48, 0x358637bd                              // 000000026EE0: 7E6002FF 358637BD
	v_max3_f32 v48, |v240|, |v241|, v48                        // 000000026EE8: D1D30330 04C3E3F0
	v_max3_f32 v48, |v242|, |v243|, v48                        // 000000026EF0: D1D30330 04C3E7F2
	v_max3_f32 v48, |v244|, |v245|, v48                        // 000000026EF8: D1D30330 04C3EBF4
	v_max3_f32 v48, |v246|, |v247|, v48                        // 000000026F00: D1D30330 04C3EFF6
	v_max3_f32 v48, |v248|, |v249|, v48                        // 000000026F08: D1D30330 04C3F3F8
	v_max3_f32 v48, |v250|, |v251|, v48                        // 000000026F10: D1D30330 04C3F7FA
	v_max3_f32 v48, |v252|, |v253|, v48                        // 000000026F18: D1D30330 04C3FBFC
	v_max3_f32 v48, |v254|, |v255|, v48                        // 000000026F20: D1D30330 04C3FFFE
	ds_write_b32 v8, v48 offset:20992                          // 000000026F28: D81A5200 00003008
	v_sub_f32_e32 v51, v13, v15                                // 000000026F30: 04661F0D
	v_cndmask_b32_e64 v51, v51, 0, s[40:41]                    // 000000026F34: D1000033 00A10133
	v_mov_b32_e32 v13, v15                                     // 000000026F3C: 7E1A030F
	v_mul_f32_e32 v51, s64, v51                                // 000000026F40: 0A666640
	v_exp_f32_e32 v51, v51                                     // 000000026F44: 7E664133
	s_waitcnt lgkmcnt(0)                                       // 000000026F48: BF8CC07F
	s_barrier                                                  // 000000026F4C: BF8A0000
	ds_read_b32 v64, v7 offset:20992                           // 000000026F50: D86C5200 40000007
	ds_read_b32 v65, v7 offset:21056                           // 000000026F58: D86C5240 41000007
	ds_read_b32 v66, v7 offset:21120                           // 000000026F60: D86C5280 42000007
	ds_read_b32 v67, v7 offset:21184                           // 000000026F68: D86C52C0 43000007
	ds_read_b32 v68, v7 offset:21248                           // 000000026F70: D86C5300 44000007
	ds_read_b32 v69, v7 offset:21312                           // 000000026F78: D86C5340 45000007
	ds_read_b32 v70, v7 offset:21376                           // 000000026F80: D86C5380 46000007
	ds_read_b32 v71, v7 offset:21440                           // 000000026F88: D86C53C0 47000007
	ds_read_b32 v72, v7 offset:21504                           // 000000026F90: D86C5400 48000007
	ds_read_b32 v73, v7 offset:21568                           // 000000026F98: D86C5440 49000007
	ds_read_b32 v74, v7 offset:21632                           // 000000026FA0: D86C5480 4A000007
	ds_read_b32 v75, v7 offset:21696                           // 000000026FA8: D86C54C0 4B000007
	ds_read_b32 v76, v7 offset:21760                           // 000000026FB0: D86C5500 4C000007
	ds_read_b32 v77, v7 offset:21824                           // 000000026FB8: D86C5540 4D000007
	ds_read_b32 v78, v7 offset:21888                           // 000000026FC0: D86C5580 4E000007
	ds_read_b32 v79, v7 offset:21952                           // 000000026FC8: D86C55C0 4F000007
	v_mul_f32_e32 v40, v51, v40                                // 000000026FD0: 0A505133
	v_mov_b32_e32 v15, v144                                    // 000000026FD4: 7E1E0390
	v_add_f32_e32 v15, v145, v15                               // 000000026FD8: 021E1F91
	v_add_f32_e32 v15, v146, v15                               // 000000026FDC: 021E1F92
	v_add_f32_e32 v15, v147, v15                               // 000000026FE0: 021E1F93
	v_add_f32_e32 v15, v148, v15                               // 000000026FE4: 021E1F94
	v_add_f32_e32 v15, v149, v15                               // 000000026FE8: 021E1F95
	v_add_f32_e32 v15, v150, v15                               // 000000026FEC: 021E1F96
	v_add_f32_e32 v15, v151, v15                               // 000000026FF0: 021E1F97
	v_add_f32_e32 v15, v152, v15                               // 000000026FF4: 021E1F98
	v_add_f32_e32 v15, v153, v15                               // 000000026FF8: 021E1F99
	v_add_f32_e32 v15, v154, v15                               // 000000026FFC: 021E1F9A
	v_add_f32_e32 v15, v155, v15                               // 000000027000: 021E1F9B
	v_add_f32_e32 v15, v156, v15                               // 000000027004: 021E1F9C
	v_add_f32_e32 v15, v157, v15                               // 000000027008: 021E1F9D
	v_add_f32_e32 v15, v158, v15                               // 00000002700C: 021E1F9E
	v_add_f32_e32 v15, v159, v15                               // 000000027010: 021E1F9F
	v_add_f32_e32 v40, v15, v40                                // 000000027014: 0250510F
	s_waitcnt lgkmcnt(0)                                       // 000000027018: BF8CC07F
	v_max3_f32 v48, |v64|, |v65|, v48                          // 00000002701C: D1D30330 04C28340
	v_max3_f32 v48, |v66|, |v67|, v48                          // 000000027024: D1D30330 04C28742
	v_max3_f32 v48, |v68|, |v69|, v48                          // 00000002702C: D1D30330 04C28B44
	v_max3_f32 v48, |v70|, |v71|, v48                          // 000000027034: D1D30330 04C28F46
	v_max3_f32 v48, |v72|, |v73|, v48                          // 00000002703C: D1D30330 04C29348
	v_max3_f32 v48, |v74|, |v75|, v48                          // 000000027044: D1D30330 04C2974A
	v_max3_f32 v48, |v76|, |v77|, v48                          // 00000002704C: D1D30330 04C29B4C
	v_max3_f32 v48, |v78|, |v79|, v48                          // 000000027054: D1D30330 04C29F4E
	s_nop 2                                                    // 00000002705C: BF800002
	v_rcp_f32_e32 v48, v48                                     // 000000027060: 7E604530
	s_nop 1                                                    // 000000027064: BF800001
	v_mul_f32_e32 v48, 0x43700000, v48                         // 000000027068: 0A6060FF 43700000
	v_mul_f32_e32 v144, v48, v240                              // 000000027070: 0B21E130
	v_mul_f32_e32 v145, v48, v241                              // 000000027074: 0B23E330
	v_mul_f32_e32 v146, v48, v242                              // 000000027078: 0B25E530
	v_mul_f32_e32 v147, v48, v243                              // 00000002707C: 0B27E730
	v_mul_f32_e32 v148, v48, v244                              // 000000027080: 0B29E930
	v_mul_f32_e32 v149, v48, v245                              // 000000027084: 0B2BEB30
	v_mul_f32_e32 v150, v48, v246                              // 000000027088: 0B2DED30
	v_mul_f32_e32 v151, v48, v247                              // 00000002708C: 0B2FEF30
	v_mul_f32_e32 v152, v48, v248                              // 000000027090: 0B31F130
	v_mul_f32_e32 v153, v48, v249                              // 000000027094: 0B33F330
	v_mul_f32_e32 v154, v48, v250                              // 000000027098: 0B35F530
	v_mul_f32_e32 v155, v48, v251                              // 00000002709C: 0B37F730
	v_mul_f32_e32 v156, v48, v252                              // 0000000270A0: 0B39F930
	v_mul_f32_e32 v157, v48, v253                              // 0000000270A4: 0B3BFB30
	v_mul_f32_e32 v158, v48, v254                              // 0000000270A8: 0B3DFD30
	v_mul_f32_e32 v159, v48, v255                              // 0000000270AC: 0B3FFF30
	v_cvt_pk_fp8_f32 v144, v144, v145                          // 0000000270B0: D2A20090 00032390
	v_cvt_pk_fp8_f32 v144, v146, v147 op_sel:[0,0,1]           // 0000000270B8: D2A24090 00032792
	v_cvt_pk_fp8_f32 v145, v148, v149                          // 0000000270C0: D2A20091 00032B94
	v_cvt_pk_fp8_f32 v145, v150, v151 op_sel:[0,0,1]           // 0000000270C8: D2A24091 00032F96
	v_cvt_pk_fp8_f32 v146, v152, v153                          // 0000000270D0: D2A20092 00033398
	v_cvt_pk_fp8_f32 v146, v154, v155 op_sel:[0,0,1]           // 0000000270D8: D2A24092 0003379A
	v_cvt_pk_fp8_f32 v147, v156, v157                          // 0000000270E0: D2A20093 00033B9C
	v_cvt_pk_fp8_f32 v147, v158, v159 op_sel:[0,0,1]           // 0000000270E8: D2A24093 00033F9E
	ds_write_b32 v10, v144 offset:33280                        // 0000000270F0: D81A8200 0000900A
	ds_write_b32 v10, v145 offset:34304                        // 0000000270F8: D81A8600 0000910A
	ds_write_b32 v10, v146 offset:35328                        // 000000027100: D81A8A00 0000920A
	ds_write_b32 v10, v147 offset:36352                        // 000000027108: D81A8E00 0000930A
	v_add_f32_e32 v224, v224, v192                             // 000000027110: 03C181E0
	v_add_f32_e32 v225, v225, v193                             // 000000027114: 03C383E1
	v_add_f32_e32 v226, v226, v194                             // 000000027118: 03C585E2
	v_add_f32_e32 v227, v227, v195                             // 00000002711C: 03C787E3
	v_add_f32_e32 v228, v228, v196                             // 000000027120: 03C989E4
	v_add_f32_e32 v229, v229, v197                             // 000000027124: 03CB8BE5
	v_add_f32_e32 v230, v230, v198                             // 000000027128: 03CD8DE6
	v_add_f32_e32 v231, v231, v199                             // 00000002712C: 03CF8FE7
	v_rcp_f32_e32 v46, v48                                     // 000000027130: 7E5C4530
	s_waitcnt lgkmcnt(0)                                       // 000000027134: BF8CC07F
	s_barrier                                                  // 000000027138: BF8A0000
	ds_read_b64 v[144:145], v9 offset:33280                    // 00000002713C: D8EC8200 90000009
	ds_read_b64 v[146:147], v9 offset:33408                    // 000000027144: D8EC8280 92000009
	ds_read_b64 v[148:149], v9 offset:34304                    // 00000002714C: D8EC8600 94000009
	ds_read_b64 v[150:151], v9 offset:34432                    // 000000027154: D8EC8680 96000009
	ds_read_b64 v[152:153], v9 offset:35328                    // 00000002715C: D8EC8A00 98000009
	ds_read_b64 v[154:155], v9 offset:35456                    // 000000027164: D8EC8A80 9A000009
	ds_read_b64 v[156:157], v9 offset:36352                    // 00000002716C: D8EC8E00 9C000009
	ds_read_b64 v[158:159], v9 offset:36480                    // 000000027174: D8EC8E80 9E000009
	v_mov_b32_dpp v64, v43 row_shr:4 row_mask:0xf bank_mask:0xf// 00000002717C: 7E8002FA FF01142B
	v_mov_b32_dpp v65, v43 row_shl:4 row_mask:0xf bank_mask:0xf// 000000027184: 7E8202FA FF01042B
	v_cndmask_b32_e64 v248, v43, v64, s[44:45]                 // 00000002718C: D10000F8 00B2812B
	v_cndmask_b32_e64 v249, v65, v43, s[44:45]                 // 000000027194: D10000F9 00B25741
	v_mov_b32_dpp v64, v248 row_shr:8 row_mask:0xf bank_mask:0xf// 00000002719C: 7E8002FA FF0118F8
	v_mov_b32_dpp v65, v248 row_shl:8 row_mask:0xf bank_mask:0xf// 0000000271A4: 7E8202FA FF0108F8
	v_mov_b32_dpp v66, v249 row_shr:8 row_mask:0xf bank_mask:0xf// 0000000271AC: 7E8402FA FF0118F9
	v_mov_b32_dpp v67, v249 row_shl:8 row_mask:0xf bank_mask:0xf// 0000000271B4: 7E8602FA FF0108F9
	v_mov_b32_e32 v68, v248                                    // 0000000271BC: 7E8803F8
	v_mov_b32_e32 v69, v249                                    // 0000000271C0: 7E8A03F9
	v_cndmask_b32_e64 v248, v68, v64, s[42:43]                 // 0000000271C4: D10000F8 00AA8144
	v_cndmask_b32_e64 v250, v68, v65, s[78:79]                 // 0000000271CC: D10000FA 013A8344
	v_cndmask_b32_e64 v249, v69, v66, s[42:43]                 // 0000000271D4: D10000F9 00AA8545
	v_cndmask_b32_e64 v251, v69, v67, s[78:79]                 // 0000000271DC: D10000FB 013A8745
	v_mov_b32_dpp v64, v58 row_shr:4 row_mask:0xf bank_mask:0xf// 0000000271E4: 7E8002FA FF01143A
	v_mov_b32_dpp v65, v58 row_shl:4 row_mask:0xf bank_mask:0xf// 0000000271EC: 7E8202FA FF01043A
	v_cndmask_b32_e64 v252, v58, v64, s[44:45]                 // 0000000271F4: D10000FC 00B2813A
	v_cndmask_b32_e64 v253, v65, v58, s[44:45]                 // 0000000271FC: D10000FD 00B27541
	v_mov_b32_dpp v64, v252 row_shr:8 row_mask:0xf bank_mask:0xf// 000000027204: 7E8002FA FF0118FC
	v_mov_b32_dpp v65, v252 row_shl:8 row_mask:0xf bank_mask:0xf// 00000002720C: 7E8202FA FF0108FC
	v_mov_b32_dpp v66, v253 row_shr:8 row_mask:0xf bank_mask:0xf// 000000027214: 7E8402FA FF0118FD
	v_mov_b32_dpp v67, v253 row_shl:8 row_mask:0xf bank_mask:0xf// 00000002721C: 7E8602FA FF0108FD
	v_mov_b32_e32 v68, v252                                    // 000000027224: 7E8803FC
	v_mov_b32_e32 v69, v253                                    // 000000027228: 7E8A03FD
	v_cndmask_b32_e64 v252, v68, v64, s[42:43]                 // 00000002722C: D10000FC 00AA8144
	v_cndmask_b32_e64 v254, v68, v65, s[78:79]                 // 000000027234: D10000FE 013A8344
	v_cndmask_b32_e64 v253, v69, v66, s[42:43]                 // 00000002723C: D10000FD 00AA8545
	v_cndmask_b32_e64 v255, v69, v67, s[78:79]                 // 000000027244: D10000FF 013A8745
	v_mul_f32_e32 v160, v21, v160                              // 00000002724C: 0B414115
	v_mul_f32_e32 v161, v21, v161                              // 000000027250: 0B434315
	v_mul_f32_e32 v162, v21, v162                              // 000000027254: 0B454515
	v_mul_f32_e32 v163, v21, v163                              // 000000027258: 0B474715
	v_mul_f32_e32 v164, v21, v164                              // 00000002725C: 0B494915
	v_mul_f32_e32 v165, v21, v165                              // 000000027260: 0B4B4B15
	v_mul_f32_e32 v166, v21, v166                              // 000000027264: 0B4D4D15
	v_mul_f32_e32 v167, v21, v167                              // 000000027268: 0B4F4F15
	v_mul_f32_e32 v168, v21, v168                              // 00000002726C: 0B515115
	v_mul_f32_e32 v169, v21, v169                              // 000000027270: 0B535315
	v_mul_f32_e32 v170, v21, v170                              // 000000027274: 0B555515
	v_mul_f32_e32 v171, v21, v171                              // 000000027278: 0B575715
	v_mul_f32_e32 v172, v21, v172                              // 00000002727C: 0B595915
	v_mul_f32_e32 v173, v21, v173                              // 000000027280: 0B5B5B15
	v_mul_f32_e32 v174, v21, v174                              // 000000027284: 0B5D5D15
	v_mul_f32_e32 v175, v21, v175                              // 000000027288: 0B5F5F15
	v_mul_f32_dpp v160, v248, v160 quad_perm:[0,0,0,0] row_mask:0xf bank_mask:0xf// 00000002728C: 0B4140FA FF0000F8
	v_mul_f32_dpp v161, v248, v161 quad_perm:[1,1,1,1] row_mask:0xf bank_mask:0xf// 000000027294: 0B4342FA FF0055F8
	v_mul_f32_dpp v162, v248, v162 quad_perm:[2,2,2,2] row_mask:0xf bank_mask:0xf// 00000002729C: 0B4544FA FF00AAF8
	v_mul_f32_dpp v163, v248, v163 quad_perm:[3,3,3,3] row_mask:0xf bank_mask:0xf// 0000000272A4: 0B4746FA FF00FFF8
	v_mul_f32_dpp v164, v249, v164 quad_perm:[0,0,0,0] row_mask:0xf bank_mask:0xf// 0000000272AC: 0B4948FA FF0000F9
	v_mul_f32_dpp v165, v249, v165 quad_perm:[1,1,1,1] row_mask:0xf bank_mask:0xf// 0000000272B4: 0B4B4AFA FF0055F9
	v_mul_f32_dpp v166, v249, v166 quad_perm:[2,2,2,2] row_mask:0xf bank_mask:0xf// 0000000272BC: 0B4D4CFA FF00AAF9
	v_mul_f32_dpp v167, v249, v167 quad_perm:[3,3,3,3] row_mask:0xf bank_mask:0xf// 0000000272C4: 0B4F4EFA FF00FFF9
	v_mul_f32_dpp v168, v250, v168 quad_perm:[0,0,0,0] row_mask:0xf bank_mask:0xf// 0000000272CC: 0B5150FA FF0000FA
	v_mul_f32_dpp v169, v250, v169 quad_perm:[1,1,1,1] row_mask:0xf bank_mask:0xf// 0000000272D4: 0B5352FA FF0055FA
	v_mul_f32_dpp v170, v250, v170 quad_perm:[2,2,2,2] row_mask:0xf bank_mask:0xf// 0000000272DC: 0B5554FA FF00AAFA
	v_mul_f32_dpp v171, v250, v171 quad_perm:[3,3,3,3] row_mask:0xf bank_mask:0xf// 0000000272E4: 0B5756FA FF00FFFA
	v_mul_f32_dpp v172, v251, v172 quad_perm:[0,0,0,0] row_mask:0xf bank_mask:0xf// 0000000272EC: 0B5958FA FF0000FB
	v_mul_f32_dpp v173, v251, v173 quad_perm:[1,1,1,1] row_mask:0xf bank_mask:0xf// 0000000272F4: 0B5B5AFA FF0055FB
	v_mul_f32_dpp v174, v251, v174 quad_perm:[2,2,2,2] row_mask:0xf bank_mask:0xf// 0000000272FC: 0B5D5CFA FF00AAFB
	v_mul_f32_dpp v175, v251, v175 quad_perm:[3,3,3,3] row_mask:0xf bank_mask:0xf// 000000027304: 0B5F5EFA FF00FFFB
	s_cmp_le_i32 s90, s89                                      // 00000002730C: BF05595A
	s_cbranch_scc1 label_94B6                                  // 000000027310: BF850071
	v_mov_b32_e32 v66, 0xff800000                              // 000000027314: 7E8402FF FF800000
	s_mov_b32 s60, s90                                         // 00000002731C: BEBC005A
	s_add_u32 s61, s89, 0xff                                   // 000000027320: 803DFF59 000000FF
	v_mov_b32_e32 v64, s61                                     // 000000027328: 7E80023D
	v_lshrrev_b32_e32 v240, 4, v0                              // 00000002732C: 21E00084
	v_mul_i32_i24_e32 v240, 4, v240                            // 000000027330: 0DE1E084
	v_add_u32_e32 v240, s60, v240                              // 000000027334: 69E1E03C
	s_mov_b32 s61, 3                                           // 000000027338: BEBD0083
	s_mul_i32 s60, 16, s7                                      // 00000002733C: 923C0790
	v_sub_u32_e64 v240, v240, s61                              // 000000027340: D13500F0 00007BF0
	v_add_u32_e32 v240, s60, v240                              // 000000027348: 69E1E03C
	v_add_u32_e32 v241, 1, v240                                // 00000002734C: 69E3E081
	v_add_u32_e32 v242, 2, v240                                // 000000027350: 69E5E082
	v_add_u32_e32 v243, 3, v240                                // 000000027354: 69E7E083
	v_cmp_le_u32_e64 s[40:41], v240, v64                       // 000000027358: D0CB0028 000281F0
	v_add_u32_e32 v240, 64, v240                               // 000000027360: 69E1E0C0
	s_nop 0                                                    // 000000027364: BF800000
	v_cndmask_b32_e64 v160, v66, v160, s[40:41]                // 000000027368: D10000A0 00A34142
	v_cmp_le_u32_e64 s[40:41], v241, v64                       // 000000027370: D0CB0028 000281F1
	v_add_u32_e32 v241, 64, v241                               // 000000027378: 69E3E2C0
	s_nop 0                                                    // 00000002737C: BF800000
	v_cndmask_b32_e64 v161, v66, v161, s[40:41]                // 000000027380: D10000A1 00A34342
	v_cmp_le_u32_e64 s[40:41], v242, v64                       // 000000027388: D0CB0028 000281F2
	v_add_u32_e32 v242, 64, v242                               // 000000027390: 69E5E4C0
	s_nop 0                                                    // 000000027394: BF800000
	v_cndmask_b32_e64 v162, v66, v162, s[40:41]                // 000000027398: D10000A2 00A34542
	v_cmp_le_u32_e64 s[40:41], v243, v64                       // 0000000273A0: D0CB0028 000281F3
	v_add_u32_e32 v243, 64, v243                               // 0000000273A8: 69E7E6C0
	s_nop 0                                                    // 0000000273AC: BF800000
	v_cndmask_b32_e64 v163, v66, v163, s[40:41]                // 0000000273B0: D10000A3 00A34742
	v_cmp_le_u32_e64 s[40:41], v240, v64                       // 0000000273B8: D0CB0028 000281F0
	v_add_u32_e32 v240, 64, v240                               // 0000000273C0: 69E1E0C0
	s_nop 0                                                    // 0000000273C4: BF800000
	v_cndmask_b32_e64 v164, v66, v164, s[40:41]                // 0000000273C8: D10000A4 00A34942
	v_cmp_le_u32_e64 s[40:41], v241, v64                       // 0000000273D0: D0CB0028 000281F1
	v_add_u32_e32 v241, 64, v241                               // 0000000273D8: 69E3E2C0
	s_nop 0                                                    // 0000000273DC: BF800000
	v_cndmask_b32_e64 v165, v66, v165, s[40:41]                // 0000000273E0: D10000A5 00A34B42
	v_cmp_le_u32_e64 s[40:41], v242, v64                       // 0000000273E8: D0CB0028 000281F2
	v_add_u32_e32 v242, 64, v242                               // 0000000273F0: 69E5E4C0
	s_nop 0                                                    // 0000000273F4: BF800000
	v_cndmask_b32_e64 v166, v66, v166, s[40:41]                // 0000000273F8: D10000A6 00A34D42
	v_cmp_le_u32_e64 s[40:41], v243, v64                       // 000000027400: D0CB0028 000281F3
	v_add_u32_e32 v243, 64, v243                               // 000000027408: 69E7E6C0
	s_nop 0                                                    // 00000002740C: BF800000
	v_cndmask_b32_e64 v167, v66, v167, s[40:41]                // 000000027410: D10000A7 00A34F42
	v_cmp_le_u32_e64 s[40:41], v240, v64                       // 000000027418: D0CB0028 000281F0
	v_add_u32_e32 v240, 64, v240                               // 000000027420: 69E1E0C0
	s_nop 0                                                    // 000000027424: BF800000
	v_cndmask_b32_e64 v168, v66, v168, s[40:41]                // 000000027428: D10000A8 00A35142
	v_cmp_le_u32_e64 s[40:41], v241, v64                       // 000000027430: D0CB0028 000281F1
	v_add_u32_e32 v241, 64, v241                               // 000000027438: 69E3E2C0
	s_nop 0                                                    // 00000002743C: BF800000
	v_cndmask_b32_e64 v169, v66, v169, s[40:41]                // 000000027440: D10000A9 00A35342
	v_cmp_le_u32_e64 s[40:41], v242, v64                       // 000000027448: D0CB0028 000281F2
	v_add_u32_e32 v242, 64, v242                               // 000000027450: 69E5E4C0
	s_nop 0                                                    // 000000027454: BF800000
	v_cndmask_b32_e64 v170, v66, v170, s[40:41]                // 000000027458: D10000AA 00A35542
	v_cmp_le_u32_e64 s[40:41], v243, v64                       // 000000027460: D0CB0028 000281F3
	v_add_u32_e32 v243, 64, v243                               // 000000027468: 69E7E6C0
	s_nop 0                                                    // 00000002746C: BF800000
	v_cndmask_b32_e64 v171, v66, v171, s[40:41]                // 000000027470: D10000AB 00A35742
	v_cmp_le_u32_e64 s[40:41], v240, v64                       // 000000027478: D0CB0028 000281F0
	v_add_u32_e32 v240, 64, v240                               // 000000027480: 69E1E0C0
	s_nop 0                                                    // 000000027484: BF800000
	v_cndmask_b32_e64 v172, v66, v172, s[40:41]                // 000000027488: D10000AC 00A35942
	v_cmp_le_u32_e64 s[40:41], v241, v64                       // 000000027490: D0CB0028 000281F1
	v_add_u32_e32 v241, 64, v241                               // 000000027498: 69E3E2C0
	s_nop 0                                                    // 00000002749C: BF800000
	v_cndmask_b32_e64 v173, v66, v173, s[40:41]                // 0000000274A0: D10000AD 00A35B42
	v_cmp_le_u32_e64 s[40:41], v242, v64                       // 0000000274A8: D0CB0028 000281F2
	v_add_u32_e32 v242, 64, v242                               // 0000000274B0: 69E5E4C0
	s_nop 0                                                    // 0000000274B4: BF800000
	v_cndmask_b32_e64 v174, v66, v174, s[40:41]                // 0000000274B8: D10000AE 00A35D42
	v_cmp_le_u32_e64 s[40:41], v243, v64                       // 0000000274C0: D0CB0028 000281F3
	v_add_u32_e32 v243, 64, v243                               // 0000000274C8: 69E7E6C0
	s_nop 0                                                    // 0000000274CC: BF800000
	v_cndmask_b32_e64 v175, v66, v175, s[40:41]                // 0000000274D0: D10000AF 00A35F42

00000000000274d8 <label_94B6>:
	s_add_u32 s90, s91, s90                                    // 0000000274D8: 805A5A5B
	v_mov_b32_e32 v48, v160                                    // 0000000274DC: 7E6003A0
	v_max3_f32 v48, v160, v161, v48                            // 0000000274E0: D1D30030 04C343A0
	v_max3_f32 v48, v162, v163, v48                            // 0000000274E8: D1D30030 04C347A2
	v_max3_f32 v48, v164, v165, v48                            // 0000000274F0: D1D30030 04C34BA4
	v_max3_f32 v48, v166, v167, v48                            // 0000000274F8: D1D30030 04C34FA6
	v_max3_f32 v48, v168, v169, v48                            // 000000027500: D1D30030 04C353A8
	v_max3_f32 v48, v170, v171, v48                            // 000000027508: D1D30030 04C357AA
	v_max3_f32 v48, v172, v173, v48                            // 000000027510: D1D30030 04C35BAC
	v_max3_f32 v48, v174, v175, v48                            // 000000027518: D1D30030 04C35FAE
	ds_write_b32 v8, v48 offset:16896                          // 000000027520: D81A4200 00003008
	v_mul_f32_e32 v232, v52, v232                              // 000000027528: 0BD1D134
	v_mul_f32_e32 v233, v52, v233                              // 00000002752C: 0BD3D334
	v_mul_f32_e32 v234, v52, v234                              // 000000027530: 0BD5D534
	v_mul_f32_e32 v235, v52, v235                              // 000000027534: 0BD7D734
	v_mul_f32_e32 v236, v52, v236                              // 000000027538: 0BD9D934
	v_mul_f32_e32 v237, v52, v237                              // 00000002753C: 0BDBDB34
	v_mul_f32_e32 v238, v52, v238                              // 000000027540: 0BDDDD34
	v_mul_f32_e32 v239, v52, v239                              // 000000027544: 0BDFDF34
	s_waitcnt lgkmcnt(0)                                       // 000000027548: BF8CC07F
	s_barrier                                                  // 00000002754C: BF8A0000
	ds_read_b32 v64, v7 offset:16896                           // 000000027550: D86C4200 40000007
	ds_read_b32 v65, v7 offset:16960                           // 000000027558: D86C4240 41000007
	ds_read_b32 v66, v7 offset:17024                           // 000000027560: D86C4280 42000007
	ds_read_b32 v67, v7 offset:17088                           // 000000027568: D86C42C0 43000007
	ds_read_b32 v68, v7 offset:17152                           // 000000027570: D86C4300 44000007
	ds_read_b32 v69, v7 offset:17216                           // 000000027578: D86C4340 45000007
	ds_read_b32 v70, v7 offset:17280                           // 000000027580: D86C4380 46000007
	ds_read_b32 v71, v7 offset:17344                           // 000000027588: D86C43C0 47000007
	ds_read_b32 v72, v7 offset:17408                           // 000000027590: D86C4400 48000007
	ds_read_b32 v73, v7 offset:17472                           // 000000027598: D86C4440 49000007
	ds_read_b32 v74, v7 offset:17536                           // 0000000275A0: D86C4480 4A000007
	ds_read_b32 v75, v7 offset:17600                           // 0000000275A8: D86C44C0 4B000007
	ds_read_b32 v76, v7 offset:17664                           // 0000000275B0: D86C4500 4C000007
	ds_read_b32 v77, v7 offset:17728                           // 0000000275B8: D86C4540 4D000007
	ds_read_b32 v78, v7 offset:17792                           // 0000000275C0: D86C4580 4E000007
	ds_read_b32 v79, v7 offset:17856                           // 0000000275C8: D86C45C0 4F000007
	v_mul_f32_e32 v200, v47, v200                              // 0000000275D0: 0B91912F
	v_mul_f32_e32 v201, v47, v201                              // 0000000275D4: 0B93932F
	v_mul_f32_e32 v202, v47, v202                              // 0000000275D8: 0B95952F
	v_mul_f32_e32 v203, v47, v203                              // 0000000275DC: 0B97972F
	v_mul_f32_e32 v204, v47, v204                              // 0000000275E0: 0B99992F
	v_mul_f32_e32 v205, v47, v205                              // 0000000275E4: 0B9B9B2F
	v_mul_f32_e32 v206, v47, v206                              // 0000000275E8: 0B9D9D2F
	v_mul_f32_e32 v207, v47, v207                              // 0000000275EC: 0B9F9F2F
	s_waitcnt lgkmcnt(0)                                       // 0000000275F0: BF8CC07F
	v_max3_f32 v48, v64, v65, v48                              // 0000000275F4: D1D30030 04C28340
	v_max3_f32 v48, v66, v67, v48                              // 0000000275FC: D1D30030 04C28742
	v_max3_f32 v48, v68, v69, v48                              // 000000027604: D1D30030 04C28B44
	v_max3_f32 v48, v70, v71, v48                              // 00000002760C: D1D30030 04C28F46
	v_max3_f32 v48, v72, v73, v48                              // 000000027614: D1D30030 04C29348
	v_max3_f32 v48, v74, v75, v48                              // 00000002761C: D1D30030 04C2974A
	v_max3_f32 v48, v76, v77, v48                              // 000000027624: D1D30030 04C29B4C
	v_max3_f32 v48, v78, v79, v48                              // 00000002762C: D1D30030 04C29F4E
	v_mov_b32_e32 v64, 0xff800000                              // 000000027634: 7E8002FF FF800000
	v_cmp_eq_u32_e64 s[40:41], v64, v14                        // 00000002763C: D0CA0028 00021D40
	s_nop 1                                                    // 000000027644: BF800001
	v_max_f32_e32 v15, v48, v14                                // 000000027648: 161E1D30
	v_mul_f32_e32 v53, s64, v15                                // 00000002764C: 0A6A1E40
	v_fma_f32 v160, v160, s64, -v53                            // 000000027650: D1CB00A0 84D481A0
	v_fma_f32 v161, v161, s64, -v53                            // 000000027658: D1CB00A1 84D481A1
	v_fma_f32 v162, v162, s64, -v53                            // 000000027660: D1CB00A2 84D481A2
	v_fma_f32 v163, v163, s64, -v53                            // 000000027668: D1CB00A3 84D481A3
	v_fma_f32 v164, v164, s64, -v53                            // 000000027670: D1CB00A4 84D481A4
	v_fma_f32 v165, v165, s64, -v53                            // 000000027678: D1CB00A5 84D481A5
	v_fma_f32 v166, v166, s64, -v53                            // 000000027680: D1CB00A6 84D481A6
	v_fma_f32 v167, v167, s64, -v53                            // 000000027688: D1CB00A7 84D481A7
	v_fma_f32 v168, v168, s64, -v53                            // 000000027690: D1CB00A8 84D481A8
	v_fma_f32 v169, v169, s64, -v53                            // 000000027698: D1CB00A9 84D481A9
	v_fma_f32 v170, v170, s64, -v53                            // 0000000276A0: D1CB00AA 84D481AA
	v_fma_f32 v171, v171, s64, -v53                            // 0000000276A8: D1CB00AB 84D481AB
	v_fma_f32 v172, v172, s64, -v53                            // 0000000276B0: D1CB00AC 84D481AC
	v_fma_f32 v173, v173, s64, -v53                            // 0000000276B8: D1CB00AD 84D481AD
	v_fma_f32 v174, v174, s64, -v53                            // 0000000276C0: D1CB00AE 84D481AE
	v_fma_f32 v175, v175, s64, -v53                            // 0000000276C8: D1CB00AF 84D481AF
	v_exp_f32_e32 v160, v160                                   // 0000000276D0: 7F4041A0
	v_exp_f32_e32 v161, v161                                   // 0000000276D4: 7F4241A1
	v_exp_f32_e32 v162, v162                                   // 0000000276D8: 7F4441A2
	v_exp_f32_e32 v163, v163                                   // 0000000276DC: 7F4641A3
	v_exp_f32_e32 v164, v164                                   // 0000000276E0: 7F4841A4
	v_exp_f32_e32 v165, v165                                   // 0000000276E4: 7F4A41A5
	v_exp_f32_e32 v166, v166                                   // 0000000276E8: 7F4C41A6
	v_exp_f32_e32 v167, v167                                   // 0000000276EC: 7F4E41A7
	v_exp_f32_e32 v168, v168                                   // 0000000276F0: 7F5041A8
	v_exp_f32_e32 v169, v169                                   // 0000000276F4: 7F5241A9
	v_exp_f32_e32 v170, v170                                   // 0000000276F8: 7F5441AA
	v_exp_f32_e32 v171, v171                                   // 0000000276FC: 7F5641AB
	v_exp_f32_e32 v172, v172                                   // 000000027700: 7F5841AC
	v_exp_f32_e32 v173, v173                                   // 000000027704: 7F5A41AD
	v_exp_f32_e32 v174, v174                                   // 000000027708: 7F5C41AE
	v_exp_f32_e32 v175, v175                                   // 00000002770C: 7F5E41AF
	v_mul_f32_dpp v240, v252, v160 quad_perm:[0,0,0,0] row_mask:0xf bank_mask:0xf// 000000027710: 0BE140FA FF0000FC
	v_mul_f32_dpp v241, v252, v161 quad_perm:[1,1,1,1] row_mask:0xf bank_mask:0xf// 000000027718: 0BE342FA FF0055FC
	v_mul_f32_dpp v242, v252, v162 quad_perm:[2,2,2,2] row_mask:0xf bank_mask:0xf// 000000027720: 0BE544FA FF00AAFC
	v_mul_f32_dpp v243, v252, v163 quad_perm:[3,3,3,3] row_mask:0xf bank_mask:0xf// 000000027728: 0BE746FA FF00FFFC
	v_mul_f32_dpp v244, v253, v164 quad_perm:[0,0,0,0] row_mask:0xf bank_mask:0xf// 000000027730: 0BE948FA FF0000FD
	v_mul_f32_dpp v245, v253, v165 quad_perm:[1,1,1,1] row_mask:0xf bank_mask:0xf// 000000027738: 0BEB4AFA FF0055FD
	v_mul_f32_dpp v246, v253, v166 quad_perm:[2,2,2,2] row_mask:0xf bank_mask:0xf// 000000027740: 0BED4CFA FF00AAFD
	v_mul_f32_dpp v247, v253, v167 quad_perm:[3,3,3,3] row_mask:0xf bank_mask:0xf// 000000027748: 0BEF4EFA FF00FFFD
	v_mul_f32_dpp v248, v254, v168 quad_perm:[0,0,0,0] row_mask:0xf bank_mask:0xf// 000000027750: 0BF150FA FF0000FE
	v_mul_f32_dpp v249, v254, v169 quad_perm:[1,1,1,1] row_mask:0xf bank_mask:0xf// 000000027758: 0BF352FA FF0055FE
	v_mul_f32_dpp v250, v254, v170 quad_perm:[2,2,2,2] row_mask:0xf bank_mask:0xf// 000000027760: 0BF554FA FF00AAFE
	v_mul_f32_dpp v251, v254, v171 quad_perm:[3,3,3,3] row_mask:0xf bank_mask:0xf// 000000027768: 0BF756FA FF00FFFE
	v_mul_f32_dpp v252, v255, v172 quad_perm:[0,0,0,0] row_mask:0xf bank_mask:0xf// 000000027770: 0BF958FA FF0000FF
	v_mul_f32_dpp v253, v255, v173 quad_perm:[1,1,1,1] row_mask:0xf bank_mask:0xf// 000000027778: 0BFB5AFA FF0055FF
	v_mul_f32_dpp v254, v255, v174 quad_perm:[2,2,2,2] row_mask:0xf bank_mask:0xf// 000000027780: 0BFD5CFA FF00AAFF
	v_mul_f32_dpp v255, v255, v175 quad_perm:[3,3,3,3] row_mask:0xf bank_mask:0xf// 000000027788: 0BFF5EFA FF00FFFF
	v_mov_b32_e32 v48, 0x358637bd                              // 000000027790: 7E6002FF 358637BD
	v_max3_f32 v48, |v240|, |v241|, v48                        // 000000027798: D1D30330 04C3E3F0
	v_max3_f32 v48, |v242|, |v243|, v48                        // 0000000277A0: D1D30330 04C3E7F2
	v_max3_f32 v48, |v244|, |v245|, v48                        // 0000000277A8: D1D30330 04C3EBF4
	v_max3_f32 v48, |v246|, |v247|, v48                        // 0000000277B0: D1D30330 04C3EFF6
	v_max3_f32 v48, |v248|, |v249|, v48                        // 0000000277B8: D1D30330 04C3F3F8
	v_max3_f32 v48, |v250|, |v251|, v48                        // 0000000277C0: D1D30330 04C3F7FA
	v_max3_f32 v48, |v252|, |v253|, v48                        // 0000000277C8: D1D30330 04C3FBFC
	v_max3_f32 v48, |v254|, |v255|, v48                        // 0000000277D0: D1D30330 04C3FFFE
	ds_write_b32 v8, v48 offset:20992                          // 0000000277D8: D81A5200 00003008
	v_sub_f32_e32 v52, v14, v15                                // 0000000277E0: 04681F0E
	v_cndmask_b32_e64 v52, v52, 0, s[40:41]                    // 0000000277E4: D1000034 00A10134
	v_mov_b32_e32 v14, v15                                     // 0000000277EC: 7E1C030F
	v_mul_f32_e32 v52, s64, v52                                // 0000000277F0: 0A686840
	v_exp_f32_e32 v52, v52                                     // 0000000277F4: 7E684134
	s_waitcnt lgkmcnt(0)                                       // 0000000277F8: BF8CC07F
	s_barrier                                                  // 0000000277FC: BF8A0000
	ds_read_b32 v64, v7 offset:20992                           // 000000027800: D86C5200 40000007
	ds_read_b32 v65, v7 offset:21056                           // 000000027808: D86C5240 41000007
	ds_read_b32 v66, v7 offset:21120                           // 000000027810: D86C5280 42000007
	ds_read_b32 v67, v7 offset:21184                           // 000000027818: D86C52C0 43000007
	ds_read_b32 v68, v7 offset:21248                           // 000000027820: D86C5300 44000007
	ds_read_b32 v69, v7 offset:21312                           // 000000027828: D86C5340 45000007
	ds_read_b32 v70, v7 offset:21376                           // 000000027830: D86C5380 46000007
	ds_read_b32 v71, v7 offset:21440                           // 000000027838: D86C53C0 47000007
	ds_read_b32 v72, v7 offset:21504                           // 000000027840: D86C5400 48000007
	ds_read_b32 v73, v7 offset:21568                           // 000000027848: D86C5440 49000007
	ds_read_b32 v74, v7 offset:21632                           // 000000027850: D86C5480 4A000007
	ds_read_b32 v75, v7 offset:21696                           // 000000027858: D86C54C0 4B000007
	ds_read_b32 v76, v7 offset:21760                           // 000000027860: D86C5500 4C000007
	ds_read_b32 v77, v7 offset:21824                           // 000000027868: D86C5540 4D000007
	ds_read_b32 v78, v7 offset:21888                           // 000000027870: D86C5580 4E000007
	ds_read_b32 v79, v7 offset:21952                           // 000000027878: D86C55C0 4F000007
	v_mul_f32_e32 v41, v52, v41                                // 000000027880: 0A525334
	v_mov_b32_e32 v15, v160                                    // 000000027884: 7E1E03A0
	v_add_f32_e32 v15, v161, v15                               // 000000027888: 021E1FA1
	v_add_f32_e32 v15, v162, v15                               // 00000002788C: 021E1FA2
	v_add_f32_e32 v15, v163, v15                               // 000000027890: 021E1FA3
	v_add_f32_e32 v15, v164, v15                               // 000000027894: 021E1FA4
	v_add_f32_e32 v15, v165, v15                               // 000000027898: 021E1FA5
	v_add_f32_e32 v15, v166, v15                               // 00000002789C: 021E1FA6
	v_add_f32_e32 v15, v167, v15                               // 0000000278A0: 021E1FA7
	v_add_f32_e32 v15, v168, v15                               // 0000000278A4: 021E1FA8
	v_add_f32_e32 v15, v169, v15                               // 0000000278A8: 021E1FA9
	v_add_f32_e32 v15, v170, v15                               // 0000000278AC: 021E1FAA
	v_add_f32_e32 v15, v171, v15                               // 0000000278B0: 021E1FAB
	v_add_f32_e32 v15, v172, v15                               // 0000000278B4: 021E1FAC
	v_add_f32_e32 v15, v173, v15                               // 0000000278B8: 021E1FAD
	v_add_f32_e32 v15, v174, v15                               // 0000000278BC: 021E1FAE
	v_add_f32_e32 v15, v175, v15                               // 0000000278C0: 021E1FAF
	v_add_f32_e32 v41, v15, v41                                // 0000000278C4: 0252530F
	s_waitcnt lgkmcnt(0)                                       // 0000000278C8: BF8CC07F
	v_max3_f32 v48, |v64|, |v65|, v48                          // 0000000278CC: D1D30330 04C28340
	v_max3_f32 v48, |v66|, |v67|, v48                          // 0000000278D4: D1D30330 04C28742
	v_max3_f32 v48, |v68|, |v69|, v48                          // 0000000278DC: D1D30330 04C28B44
	v_max3_f32 v48, |v70|, |v71|, v48                          // 0000000278E4: D1D30330 04C28F46
	v_max3_f32 v48, |v72|, |v73|, v48                          // 0000000278EC: D1D30330 04C29348
	v_max3_f32 v48, |v74|, |v75|, v48                          // 0000000278F4: D1D30330 04C2974A
	v_max3_f32 v48, |v76|, |v77|, v48                          // 0000000278FC: D1D30330 04C29B4C
	v_max3_f32 v48, |v78|, |v79|, v48                          // 000000027904: D1D30330 04C29F4E
	s_nop 2                                                    // 00000002790C: BF800002
	v_rcp_f32_e32 v48, v48                                     // 000000027910: 7E604530
	s_nop 1                                                    // 000000027914: BF800001
	v_mul_f32_e32 v48, 0x43700000, v48                         // 000000027918: 0A6060FF 43700000
	v_mul_f32_e32 v160, v48, v240                              // 000000027920: 0B41E130
	v_mul_f32_e32 v161, v48, v241                              // 000000027924: 0B43E330
	v_mul_f32_e32 v162, v48, v242                              // 000000027928: 0B45E530
	v_mul_f32_e32 v163, v48, v243                              // 00000002792C: 0B47E730
	v_mul_f32_e32 v164, v48, v244                              // 000000027930: 0B49E930
	v_mul_f32_e32 v165, v48, v245                              // 000000027934: 0B4BEB30
	v_mul_f32_e32 v166, v48, v246                              // 000000027938: 0B4DED30
	v_mul_f32_e32 v167, v48, v247                              // 00000002793C: 0B4FEF30
	v_mul_f32_e32 v168, v48, v248                              // 000000027940: 0B51F130
	v_mul_f32_e32 v169, v48, v249                              // 000000027944: 0B53F330
	v_mul_f32_e32 v170, v48, v250                              // 000000027948: 0B55F530
	v_mul_f32_e32 v171, v48, v251                              // 00000002794C: 0B57F730
	v_mul_f32_e32 v172, v48, v252                              // 000000027950: 0B59F930
	v_mul_f32_e32 v173, v48, v253                              // 000000027954: 0B5BFB30
	v_mul_f32_e32 v174, v48, v254                              // 000000027958: 0B5DFD30
	v_mul_f32_e32 v175, v48, v255                              // 00000002795C: 0B5FFF30
	v_cvt_pk_fp8_f32 v160, v160, v161                          // 000000027960: D2A200A0 000343A0
	v_cvt_pk_fp8_f32 v160, v162, v163 op_sel:[0,0,1]           // 000000027968: D2A240A0 000347A2
	v_cvt_pk_fp8_f32 v161, v164, v165                          // 000000027970: D2A200A1 00034BA4
	v_cvt_pk_fp8_f32 v161, v166, v167 op_sel:[0,0,1]           // 000000027978: D2A240A1 00034FA6
	v_cvt_pk_fp8_f32 v162, v168, v169                          // 000000027980: D2A200A2 000353A8
	v_cvt_pk_fp8_f32 v162, v170, v171 op_sel:[0,0,1]           // 000000027988: D2A240A2 000357AA
	v_cvt_pk_fp8_f32 v163, v172, v173                          // 000000027990: D2A200A3 00035BAC
	v_cvt_pk_fp8_f32 v163, v174, v175 op_sel:[0,0,1]           // 000000027998: D2A240A3 00035FAE
	ds_write_b32 v10, v160 offset:37376                        // 0000000279A0: D81A9200 0000A00A
	ds_write_b32 v10, v161 offset:38400                        // 0000000279A8: D81A9600 0000A10A
	ds_write_b32 v10, v162 offset:39424                        // 0000000279B0: D81A9A00 0000A20A
	ds_write_b32 v10, v163 offset:40448                        // 0000000279B8: D81A9E00 0000A30A
	v_add_f32_e32 v232, v232, v200                             // 0000000279C0: 03D191E8
	v_add_f32_e32 v233, v233, v201                             // 0000000279C4: 03D393E9
	v_add_f32_e32 v234, v234, v202                             // 0000000279C8: 03D595EA
	v_add_f32_e32 v235, v235, v203                             // 0000000279CC: 03D797EB
	v_add_f32_e32 v236, v236, v204                             // 0000000279D0: 03D999EC
	v_add_f32_e32 v237, v237, v205                             // 0000000279D4: 03DB9BED
	v_add_f32_e32 v238, v238, v206                             // 0000000279D8: 03DD9DEE
	v_add_f32_e32 v239, v239, v207                             // 0000000279DC: 03DF9FEF
	v_rcp_f32_e32 v47, v48                                     // 0000000279E0: 7E5E4530
	s_waitcnt lgkmcnt(0)                                       // 0000000279E4: BF8CC07F
	s_barrier                                                  // 0000000279E8: BF8A0000
	ds_read_b64 v[160:161], v9 offset:37376                    // 0000000279EC: D8EC9200 A0000009
	ds_read_b64 v[162:163], v9 offset:37504                    // 0000000279F4: D8EC9280 A2000009
	ds_read_b64 v[164:165], v9 offset:38400                    // 0000000279FC: D8EC9600 A4000009
	ds_read_b64 v[166:167], v9 offset:38528                    // 000000027A04: D8EC9680 A6000009
	ds_read_b64 v[168:169], v9 offset:39424                    // 000000027A0C: D8EC9A00 A8000009
	ds_read_b64 v[170:171], v9 offset:39552                    // 000000027A14: D8EC9A80 AA000009
	ds_read_b64 v[172:173], v9 offset:40448                    // 000000027A1C: D8EC9E00 AC000009
	ds_read_b64 v[174:175], v9 offset:40576                    // 000000027A24: D8EC9E80 AE000009
	s_waitcnt vmcnt(15)                                        // 000000027A2C: BF8C0F7F
	v_mfma_f32_16x16x32_fp8_fp8 v[176:179], a[96:97], v[112:113], 0// 000000027A30: D3F300B0 0A02E160
	buffer_load_dwordx4 a[80:83], v30, s[20:23], 0 offen offset:1024// 000000027A38: E05C1400 8085501E
	v_mfma_f32_16x16x32_fp8_fp8 v[176:179], a[98:99], v[114:115], v[176:179]// 000000027A40: D3F300B0 0EC2E562
	v_mfma_f32_16x16x32_fp8_fp8 v[176:179], a[100:101], v[116:117], v[176:179]// 000000027A48: D3F300B0 0EC2E964
	v_mfma_f32_16x16x32_fp8_fp8 v[176:179], a[102:103], v[118:119], v[176:179]// 000000027A50: D3F300B0 0EC2ED66
	v_mfma_f32_16x16x32_fp8_fp8 v[176:179], a[104:105], v[120:121], v[176:179]// 000000027A58: D3F300B0 0EC2F168
	buffer_load_dwordx4 a[84:87], v31, s[20:23], 0 offen offset:1024// 000000027A60: E05C1400 8085541F
	v_mfma_f32_16x16x32_fp8_fp8 v[176:179], a[106:107], v[122:123], v[176:179]// 000000027A68: D3F300B0 0EC2F56A
	v_mfma_f32_16x16x32_fp8_fp8 v[176:179], a[108:109], v[124:125], v[176:179]// 000000027A70: D3F300B0 0EC2F96C
	v_mfma_f32_16x16x32_fp8_fp8 v[176:179], a[110:111], v[126:127], v[176:179]// 000000027A78: D3F300B0 0EC2FD6E
	v_mfma_f32_16x16x32_fp8_fp8 v[180:183], a[112:113], v[112:113], 0// 000000027A80: D3F300B4 0A02E170
	buffer_load_dwordx4 a[88:91], v32, s[20:23], 0 offen offset:1024// 000000027A88: E05C1400 80855820
	v_mfma_f32_16x16x32_fp8_fp8 v[180:183], a[114:115], v[114:115], v[180:183]// 000000027A90: D3F300B4 0ED2E572
	v_mfma_f32_16x16x32_fp8_fp8 v[180:183], a[116:117], v[116:117], v[180:183]// 000000027A98: D3F300B4 0ED2E974
	v_mfma_f32_16x16x32_fp8_fp8 v[180:183], a[118:119], v[118:119], v[180:183]// 000000027AA0: D3F300B4 0ED2ED76
	v_mfma_f32_16x16x32_fp8_fp8 v[180:183], a[120:121], v[120:121], v[180:183]// 000000027AA8: D3F300B4 0ED2F178
	buffer_load_dwordx4 a[92:95], v33, s[20:23], 0 offen offset:1024// 000000027AB0: E05C1400 80855C21
	v_mfma_f32_16x16x32_fp8_fp8 v[180:183], a[122:123], v[122:123], v[180:183]// 000000027AB8: D3F300B4 0ED2F57A
	v_mfma_f32_16x16x32_fp8_fp8 v[180:183], a[124:125], v[124:125], v[180:183]// 000000027AC0: D3F300B4 0ED2F97C
	s_lshr_b32 s57, s70, 4                                     // 000000027AC8: 8F398446
	s_add_u32 s57, 48, s57                                     // 000000027ACC: 803939B0
	v_mfma_f32_16x16x32_fp8_fp8 v[180:183], a[126:127], v[126:127], v[180:183]// 000000027AD0: D3F300B4 0ED2FD7E
	s_cmp_ge_u32 s57, s73                                      // 000000027AD8: BF094939
	s_cselect_b32 s56, 0, s56                                  // 000000027ADC: 85383880
	v_mfma_f32_16x16x32_fp8_fp8 v[184:187], a[96:97], v[128:129], 0// 000000027AE0: D3F300B8 0A030160
	v_mfma_f32_16x16x32_fp8_fp8 v[184:187], a[98:99], v[130:131], v[184:187]// 000000027AE8: D3F300B8 0EE30562
	v_mfma_f32_16x16x32_fp8_fp8 v[184:187], a[100:101], v[132:133], v[184:187]// 000000027AF0: D3F300B8 0EE30964
	v_mfma_f32_16x16x32_fp8_fp8 v[184:187], a[102:103], v[134:135], v[184:187]// 000000027AF8: D3F300B8 0EE30D66
	v_mfma_f32_16x16x32_fp8_fp8 v[184:187], a[104:105], v[136:137], v[184:187]// 000000027B00: D3F300B8 0EE31168
	v_mfma_f32_16x16x32_fp8_fp8 v[184:187], a[106:107], v[138:139], v[184:187]// 000000027B08: D3F300B8 0EE3156A
	v_mfma_f32_16x16x32_fp8_fp8 v[184:187], a[108:109], v[140:141], v[184:187]// 000000027B10: D3F300B8 0EE3196C
	v_mfma_f32_16x16x32_fp8_fp8 v[184:187], a[110:111], v[142:143], v[184:187]// 000000027B18: D3F300B8 0EE31D6E
	v_mfma_f32_16x16x32_fp8_fp8 v[188:191], a[112:113], v[128:129], 0// 000000027B20: D3F300BC 0A030170
	v_mfma_f32_16x16x32_fp8_fp8 v[188:191], a[114:115], v[130:131], v[188:191]// 000000027B28: D3F300BC 0EF30572
	v_mfma_f32_16x16x32_fp8_fp8 v[188:191], a[116:117], v[132:133], v[188:191]// 000000027B30: D3F300BC 0EF30974
	v_mfma_f32_16x16x32_fp8_fp8 v[188:191], a[118:119], v[134:135], v[188:191]// 000000027B38: D3F300BC 0EF30D76
	v_mfma_f32_16x16x32_fp8_fp8 v[188:191], a[120:121], v[136:137], v[188:191]// 000000027B40: D3F300BC 0EF31178
	v_mfma_f32_16x16x32_fp8_fp8 v[188:191], a[122:123], v[138:139], v[188:191]// 000000027B48: D3F300BC 0EF3157A
	v_mfma_f32_16x16x32_fp8_fp8 v[188:191], a[124:125], v[140:141], v[188:191]// 000000027B50: D3F300BC 0EF3197C
	v_mfma_f32_16x16x32_fp8_fp8 v[188:191], a[126:127], v[142:143], v[188:191]// 000000027B58: D3F300BC 0EF31D7E
	v_mfma_f32_16x16x32_fp8_fp8 v[192:195], a[96:97], v[144:145], 0// 000000027B60: D3F300C0 0A032160
	v_mfma_f32_16x16x32_fp8_fp8 v[192:195], a[98:99], v[146:147], v[192:195]// 000000027B68: D3F300C0 0F032562
	v_mfma_f32_16x16x32_fp8_fp8 v[192:195], a[100:101], v[148:149], v[192:195]// 000000027B70: D3F300C0 0F032964
	v_mfma_f32_16x16x32_fp8_fp8 v[192:195], a[102:103], v[150:151], v[192:195]// 000000027B78: D3F300C0 0F032D66
	v_mfma_f32_16x16x32_fp8_fp8 v[192:195], a[104:105], v[152:153], v[192:195]// 000000027B80: D3F300C0 0F033168
	v_mfma_f32_16x16x32_fp8_fp8 v[192:195], a[106:107], v[154:155], v[192:195]// 000000027B88: D3F300C0 0F03356A
	v_mfma_f32_16x16x32_fp8_fp8 v[192:195], a[108:109], v[156:157], v[192:195]// 000000027B90: D3F300C0 0F03396C
	v_mfma_f32_16x16x32_fp8_fp8 v[192:195], a[110:111], v[158:159], v[192:195]// 000000027B98: D3F300C0 0F033D6E
	v_mfma_f32_16x16x32_fp8_fp8 v[196:199], a[112:113], v[144:145], 0// 000000027BA0: D3F300C4 0A032170
	v_mfma_f32_16x16x32_fp8_fp8 v[196:199], a[114:115], v[146:147], v[196:199]// 000000027BA8: D3F300C4 0F132572
	v_mfma_f32_16x16x32_fp8_fp8 v[196:199], a[116:117], v[148:149], v[196:199]// 000000027BB0: D3F300C4 0F132974
	v_mfma_f32_16x16x32_fp8_fp8 v[196:199], a[118:119], v[150:151], v[196:199]// 000000027BB8: D3F300C4 0F132D76
	v_mfma_f32_16x16x32_fp8_fp8 v[196:199], a[120:121], v[152:153], v[196:199]// 000000027BC0: D3F300C4 0F133178
	v_mfma_f32_16x16x32_fp8_fp8 v[196:199], a[122:123], v[154:155], v[196:199]// 000000027BC8: D3F300C4 0F13357A
	v_mfma_f32_16x16x32_fp8_fp8 v[196:199], a[124:125], v[156:157], v[196:199]// 000000027BD0: D3F300C4 0F13397C
	v_mfma_f32_16x16x32_fp8_fp8 v[196:199], a[126:127], v[158:159], v[196:199]// 000000027BD8: D3F300C4 0F133D7E
	v_mfma_f32_16x16x32_fp8_fp8 v[200:203], a[96:97], v[160:161], 0// 000000027BE0: D3F300C8 0A034160
	v_mfma_f32_16x16x32_fp8_fp8 v[200:203], a[98:99], v[162:163], v[200:203]// 000000027BE8: D3F300C8 0F234562
	v_mfma_f32_16x16x32_fp8_fp8 v[200:203], a[100:101], v[164:165], v[200:203]// 000000027BF0: D3F300C8 0F234964
	v_mfma_f32_16x16x32_fp8_fp8 v[200:203], a[102:103], v[166:167], v[200:203]// 000000027BF8: D3F300C8 0F234D66
	v_mfma_f32_16x16x32_fp8_fp8 v[200:203], a[104:105], v[168:169], v[200:203]// 000000027C00: D3F300C8 0F235168
	v_mfma_f32_16x16x32_fp8_fp8 v[200:203], a[106:107], v[170:171], v[200:203]// 000000027C08: D3F300C8 0F23556A
	v_mfma_f32_16x16x32_fp8_fp8 v[200:203], a[108:109], v[172:173], v[200:203]// 000000027C10: D3F300C8 0F23596C
	v_mfma_f32_16x16x32_fp8_fp8 v[200:203], a[110:111], v[174:175], v[200:203]// 000000027C18: D3F300C8 0F235D6E
	v_mfma_f32_16x16x32_fp8_fp8 v[204:207], a[112:113], v[160:161], 0// 000000027C20: D3F300CC 0A034170
	v_mfma_f32_16x16x32_fp8_fp8 v[204:207], a[114:115], v[162:163], v[204:207]// 000000027C28: D3F300CC 0F334572
	v_mfma_f32_16x16x32_fp8_fp8 v[204:207], a[116:117], v[164:165], v[204:207]// 000000027C30: D3F300CC 0F334974
	v_mfma_f32_16x16x32_fp8_fp8 v[204:207], a[118:119], v[166:167], v[204:207]// 000000027C38: D3F300CC 0F334D76
	v_mfma_f32_16x16x32_fp8_fp8 v[204:207], a[120:121], v[168:169], v[204:207]// 000000027C40: D3F300CC 0F335178
	v_mfma_f32_16x16x32_fp8_fp8 v[204:207], a[122:123], v[170:171], v[204:207]// 000000027C48: D3F300CC 0F33557A
	v_mfma_f32_16x16x32_fp8_fp8 v[204:207], a[124:125], v[172:173], v[204:207]// 000000027C50: D3F300CC 0F33597C
	v_mfma_f32_16x16x32_fp8_fp8 v[204:207], a[126:127], v[174:175], v[204:207]// 000000027C58: D3F300CC 0F335D7E
	v_add_u32_e32 v1, s56, v1                                  // 000000027C60: 68020238
	s_addk_i32 s70, 0x100                                      // 000000027C64: B7460100
	s_cmp_lt_i32 s70, s71                                      // 000000027C68: BF044746
	s_cbranch_scc0 label_82A3                                  // 000000027C6C: BF84EC07
	s_branch label_82A6                                        // 000000027C70: BF82EC09

0000000000027c74 <label_969D>:
	s_lshr_b32 s60, s71, 4                                     // 000000027C74: 8F3C8447
	s_cmp_eq_i32 s60, s73                                      // 000000027C78: BF00493C
	s_cbranch_scc1 label_AD82                                  // 000000027C7C: BF8516E2
	s_lshr_b32 s60, s71, 8                                     // 000000027C80: 8F3C8847
	s_and_b32 s60, s60, 1                                      // 000000027C84: 863C813C
	s_cmp_eq_i32 s60, 1                                        // 000000027C88: BF00813C
	s_cbranch_scc1 label_A213                                  // 000000027C8C: BF850B6F
	s_waitcnt vmcnt(8) lgkmcnt(0)                              // 000000027C90: BF8C0078
	s_barrier                                                  // 000000027C94: BF8A0000
	v_mfma_f32_16x16x32_fp8_fp8 v[112:115], a[0:1], v[80:81], 0// 000000027C98: D3F30070 0A02A100
	v_mfma_f32_16x16x32_fp8_fp8 v[112:115], a[2:3], v[82:83], v[112:115]// 000000027CA0: D3F30070 0DC2A502
	v_mfma_f32_16x16x32_fp8_fp8 v[112:115], a[4:5], v[84:85], v[112:115]// 000000027CA8: D3F30070 0DC2A904
	v_mfma_f32_16x16x32_fp8_fp8 v[112:115], a[6:7], v[86:87], v[112:115]// 000000027CB0: D3F30070 0DC2AD06
	v_mfma_f32_16x16x32_fp8_fp8 v[116:119], a[8:9], v[80:81], 0// 000000027CB8: D3F30074 0A02A108
	v_mfma_f32_16x16x32_fp8_fp8 v[116:119], a[10:11], v[82:83], v[116:119]// 000000027CC0: D3F30074 0DD2A50A
	v_mfma_f32_16x16x32_fp8_fp8 v[116:119], a[12:13], v[84:85], v[116:119]// 000000027CC8: D3F30074 0DD2A90C
	v_mfma_f32_16x16x32_fp8_fp8 v[116:119], a[14:15], v[86:87], v[116:119]// 000000027CD0: D3F30074 0DD2AD0E
	v_mfma_f32_16x16x32_fp8_fp8 v[120:123], a[16:17], v[80:81], 0// 000000027CD8: D3F30078 0A02A110
	v_mfma_f32_16x16x32_fp8_fp8 v[120:123], a[18:19], v[82:83], v[120:123]// 000000027CE0: D3F30078 0DE2A512
	v_mfma_f32_16x16x32_fp8_fp8 v[120:123], a[20:21], v[84:85], v[120:123]// 000000027CE8: D3F30078 0DE2A914
	v_mfma_f32_16x16x32_fp8_fp8 v[120:123], a[22:23], v[86:87], v[120:123]// 000000027CF0: D3F30078 0DE2AD16
	v_mfma_f32_16x16x32_fp8_fp8 v[124:127], a[24:25], v[80:81], 0// 000000027CF8: D3F3007C 0A02A118
	v_mfma_f32_16x16x32_fp8_fp8 v[124:127], a[26:27], v[82:83], v[124:127]// 000000027D00: D3F3007C 0DF2A51A
	v_mfma_f32_16x16x32_fp8_fp8 v[124:127], a[28:29], v[84:85], v[124:127]// 000000027D08: D3F3007C 0DF2A91C
	v_mfma_f32_16x16x32_fp8_fp8 v[124:127], a[30:31], v[86:87], v[124:127]// 000000027D10: D3F3007C 0DF2AD1E
	v_mfma_f32_16x16x32_fp8_fp8 v[128:131], a[0:1], v[88:89], 0// 000000027D18: D3F30080 0A02B100
	v_mfma_f32_16x16x32_fp8_fp8 v[128:131], a[2:3], v[90:91], v[128:131]// 000000027D20: D3F30080 0E02B502
	v_mfma_f32_16x16x32_fp8_fp8 v[128:131], a[4:5], v[92:93], v[128:131]// 000000027D28: D3F30080 0E02B904
	v_mfma_f32_16x16x32_fp8_fp8 v[128:131], a[6:7], v[94:95], v[128:131]// 000000027D30: D3F30080 0E02BD06
	v_mfma_f32_16x16x32_fp8_fp8 v[132:135], a[8:9], v[88:89], 0// 000000027D38: D3F30084 0A02B108
	v_mfma_f32_16x16x32_fp8_fp8 v[132:135], a[10:11], v[90:91], v[132:135]// 000000027D40: D3F30084 0E12B50A
	v_mfma_f32_16x16x32_fp8_fp8 v[132:135], a[12:13], v[92:93], v[132:135]// 000000027D48: D3F30084 0E12B90C
	v_mfma_f32_16x16x32_fp8_fp8 v[132:135], a[14:15], v[94:95], v[132:135]// 000000027D50: D3F30084 0E12BD0E
	v_mfma_f32_16x16x32_fp8_fp8 v[136:139], a[16:17], v[88:89], 0// 000000027D58: D3F30088 0A02B110
	v_mfma_f32_16x16x32_fp8_fp8 v[136:139], a[18:19], v[90:91], v[136:139]// 000000027D60: D3F30088 0E22B512
	v_mfma_f32_16x16x32_fp8_fp8 v[136:139], a[20:21], v[92:93], v[136:139]// 000000027D68: D3F30088 0E22B914
	v_mfma_f32_16x16x32_fp8_fp8 v[136:139], a[22:23], v[94:95], v[136:139]// 000000027D70: D3F30088 0E22BD16
	v_mfma_f32_16x16x32_fp8_fp8 v[140:143], a[24:25], v[88:89], 0// 000000027D78: D3F3008C 0A02B118
	v_mfma_f32_16x16x32_fp8_fp8 v[140:143], a[26:27], v[90:91], v[140:143]// 000000027D80: D3F3008C 0E32B51A
	v_mfma_f32_16x16x32_fp8_fp8 v[140:143], a[28:29], v[92:93], v[140:143]// 000000027D88: D3F3008C 0E32B91C
	v_mfma_f32_16x16x32_fp8_fp8 v[140:143], a[30:31], v[94:95], v[140:143]// 000000027D90: D3F3008C 0E32BD1E
	v_mfma_f32_16x16x32_fp8_fp8 v[144:147], a[0:1], v[96:97], 0// 000000027D98: D3F30090 0A02C100
	v_mfma_f32_16x16x32_fp8_fp8 v[144:147], a[2:3], v[98:99], v[144:147]// 000000027DA0: D3F30090 0E42C502
	v_mfma_f32_16x16x32_fp8_fp8 v[144:147], a[4:5], v[100:101], v[144:147]// 000000027DA8: D3F30090 0E42C904
	v_mfma_f32_16x16x32_fp8_fp8 v[144:147], a[6:7], v[102:103], v[144:147]// 000000027DB0: D3F30090 0E42CD06
	v_mfma_f32_16x16x32_fp8_fp8 v[148:151], a[8:9], v[96:97], 0// 000000027DB8: D3F30094 0A02C108
	v_mfma_f32_16x16x32_fp8_fp8 v[148:151], a[10:11], v[98:99], v[148:151]// 000000027DC0: D3F30094 0E52C50A
	v_mfma_f32_16x16x32_fp8_fp8 v[148:151], a[12:13], v[100:101], v[148:151]// 000000027DC8: D3F30094 0E52C90C
	v_mfma_f32_16x16x32_fp8_fp8 v[148:151], a[14:15], v[102:103], v[148:151]// 000000027DD0: D3F30094 0E52CD0E
	v_mfma_f32_16x16x32_fp8_fp8 v[152:155], a[16:17], v[96:97], 0// 000000027DD8: D3F30098 0A02C110
	v_mfma_f32_16x16x32_fp8_fp8 v[152:155], a[18:19], v[98:99], v[152:155]// 000000027DE0: D3F30098 0E62C512
	v_mfma_f32_16x16x32_fp8_fp8 v[152:155], a[20:21], v[100:101], v[152:155]// 000000027DE8: D3F30098 0E62C914
	v_mfma_f32_16x16x32_fp8_fp8 v[152:155], a[22:23], v[102:103], v[152:155]// 000000027DF0: D3F30098 0E62CD16
	v_mfma_f32_16x16x32_fp8_fp8 v[156:159], a[24:25], v[96:97], 0// 000000027DF8: D3F3009C 0A02C118
	v_mfma_f32_16x16x32_fp8_fp8 v[156:159], a[26:27], v[98:99], v[156:159]// 000000027E00: D3F3009C 0E72C51A
	v_mfma_f32_16x16x32_fp8_fp8 v[156:159], a[28:29], v[100:101], v[156:159]// 000000027E08: D3F3009C 0E72C91C
	v_mfma_f32_16x16x32_fp8_fp8 v[156:159], a[30:31], v[102:103], v[156:159]// 000000027E10: D3F3009C 0E72CD1E
	v_mfma_f32_16x16x32_fp8_fp8 v[160:163], a[0:1], v[104:105], 0// 000000027E18: D3F300A0 0A02D100
	v_mfma_f32_16x16x32_fp8_fp8 v[160:163], a[2:3], v[106:107], v[160:163]// 000000027E20: D3F300A0 0E82D502
	v_mfma_f32_16x16x32_fp8_fp8 v[160:163], a[4:5], v[108:109], v[160:163]// 000000027E28: D3F300A0 0E82D904
	v_mfma_f32_16x16x32_fp8_fp8 v[160:163], a[6:7], v[110:111], v[160:163]// 000000027E30: D3F300A0 0E82DD06
	v_mfma_f32_16x16x32_fp8_fp8 v[164:167], a[8:9], v[104:105], 0// 000000027E38: D3F300A4 0A02D108
	v_mfma_f32_16x16x32_fp8_fp8 v[164:167], a[10:11], v[106:107], v[164:167]// 000000027E40: D3F300A4 0E92D50A
	v_mfma_f32_16x16x32_fp8_fp8 v[164:167], a[12:13], v[108:109], v[164:167]// 000000027E48: D3F300A4 0E92D90C
	v_mfma_f32_16x16x32_fp8_fp8 v[164:167], a[14:15], v[110:111], v[164:167]// 000000027E50: D3F300A4 0E92DD0E
	v_mfma_f32_16x16x32_fp8_fp8 v[168:171], a[16:17], v[104:105], 0// 000000027E58: D3F300A8 0A02D110
	v_mfma_f32_16x16x32_fp8_fp8 v[168:171], a[18:19], v[106:107], v[168:171]// 000000027E60: D3F300A8 0EA2D512
	v_mfma_f32_16x16x32_fp8_fp8 v[168:171], a[20:21], v[108:109], v[168:171]// 000000027E68: D3F300A8 0EA2D914
	v_mfma_f32_16x16x32_fp8_fp8 v[168:171], a[22:23], v[110:111], v[168:171]// 000000027E70: D3F300A8 0EA2DD16
	v_mfma_f32_16x16x32_fp8_fp8 v[172:175], a[24:25], v[104:105], 0// 000000027E78: D3F300AC 0A02D118
	v_mfma_f32_16x16x32_fp8_fp8 v[172:175], a[26:27], v[106:107], v[172:175]// 000000027E80: D3F300AC 0EB2D51A
	v_mfma_f32_16x16x32_fp8_fp8 v[172:175], a[28:29], v[108:109], v[172:175]// 000000027E88: D3F300AC 0EB2D91C
	v_mfma_f32_16x16x32_fp8_fp8 v[172:175], a[30:31], v[110:111], v[172:175]// 000000027E90: D3F300AC 0EB2DD1E
	v_mov_b32_dpp v64, v42 row_shr:4 row_mask:0xf bank_mask:0xf// 000000027E98: 7E8002FA FF01142A
	v_mov_b32_dpp v65, v42 row_shl:4 row_mask:0xf bank_mask:0xf// 000000027EA0: 7E8202FA FF01042A
	v_cndmask_b32_e64 v248, v42, v64, s[44:45]                 // 000000027EA8: D10000F8 00B2812A
	v_cndmask_b32_e64 v249, v65, v42, s[44:45]                 // 000000027EB0: D10000F9 00B25541
	v_mov_b32_dpp v64, v248 row_shr:8 row_mask:0xf bank_mask:0xf// 000000027EB8: 7E8002FA FF0118F8
	v_mov_b32_dpp v65, v248 row_shl:8 row_mask:0xf bank_mask:0xf// 000000027EC0: 7E8202FA FF0108F8
	v_mov_b32_dpp v66, v249 row_shr:8 row_mask:0xf bank_mask:0xf// 000000027EC8: 7E8402FA FF0118F9
	v_mov_b32_dpp v67, v249 row_shl:8 row_mask:0xf bank_mask:0xf// 000000027ED0: 7E8602FA FF0108F9
	v_mov_b32_e32 v68, v248                                    // 000000027ED8: 7E8803F8
	v_mov_b32_e32 v69, v249                                    // 000000027EDC: 7E8A03F9
	v_cndmask_b32_e64 v248, v68, v64, s[42:43]                 // 000000027EE0: D10000F8 00AA8144
	v_cndmask_b32_e64 v250, v68, v65, s[78:79]                 // 000000027EE8: D10000FA 013A8344
	v_cndmask_b32_e64 v249, v69, v66, s[42:43]                 // 000000027EF0: D10000F9 00AA8545
	v_cndmask_b32_e64 v251, v69, v67, s[78:79]                 // 000000027EF8: D10000FB 013A8745
	v_mov_b32_dpp v64, v57 row_shr:4 row_mask:0xf bank_mask:0xf// 000000027F00: 7E8002FA FF011439
	v_mov_b32_dpp v65, v57 row_shl:4 row_mask:0xf bank_mask:0xf// 000000027F08: 7E8202FA FF010439
	v_cndmask_b32_e64 v252, v57, v64, s[44:45]                 // 000000027F10: D10000FC 00B28139
	v_cndmask_b32_e64 v253, v65, v57, s[44:45]                 // 000000027F18: D10000FD 00B27341
	v_mov_b32_dpp v64, v252 row_shr:8 row_mask:0xf bank_mask:0xf// 000000027F20: 7E8002FA FF0118FC
	v_mov_b32_dpp v65, v252 row_shl:8 row_mask:0xf bank_mask:0xf// 000000027F28: 7E8202FA FF0108FC
	v_mov_b32_dpp v66, v253 row_shr:8 row_mask:0xf bank_mask:0xf// 000000027F30: 7E8402FA FF0118FD
	v_mov_b32_dpp v67, v253 row_shl:8 row_mask:0xf bank_mask:0xf// 000000027F38: 7E8602FA FF0108FD
	v_mov_b32_e32 v68, v252                                    // 000000027F40: 7E8803FC
	v_mov_b32_e32 v69, v253                                    // 000000027F44: 7E8A03FD
	v_cndmask_b32_e64 v252, v68, v64, s[42:43]                 // 000000027F48: D10000FC 00AA8144
	v_cndmask_b32_e64 v254, v68, v65, s[78:79]                 // 000000027F50: D10000FE 013A8344
	v_cndmask_b32_e64 v253, v69, v66, s[42:43]                 // 000000027F58: D10000FD 00AA8545
	v_cndmask_b32_e64 v255, v69, v67, s[78:79]                 // 000000027F60: D10000FF 013A8745
	v_mul_f32_e32 v112, v18, v112                              // 000000027F68: 0AE0E112
	v_mul_f32_e32 v113, v18, v113                              // 000000027F6C: 0AE2E312
	v_mul_f32_e32 v114, v18, v114                              // 000000027F70: 0AE4E512
	v_mul_f32_e32 v115, v18, v115                              // 000000027F74: 0AE6E712
	v_mul_f32_e32 v116, v18, v116                              // 000000027F78: 0AE8E912
	v_mul_f32_e32 v117, v18, v117                              // 000000027F7C: 0AEAEB12
	v_mul_f32_e32 v118, v18, v118                              // 000000027F80: 0AECED12
	v_mul_f32_e32 v119, v18, v119                              // 000000027F84: 0AEEEF12
	v_mul_f32_e32 v120, v18, v120                              // 000000027F88: 0AF0F112
	v_mul_f32_e32 v121, v18, v121                              // 000000027F8C: 0AF2F312
	v_mul_f32_e32 v122, v18, v122                              // 000000027F90: 0AF4F512
	v_mul_f32_e32 v123, v18, v123                              // 000000027F94: 0AF6F712
	v_mul_f32_e32 v124, v18, v124                              // 000000027F98: 0AF8F912
	v_mul_f32_e32 v125, v18, v125                              // 000000027F9C: 0AFAFB12
	v_mul_f32_e32 v126, v18, v126                              // 000000027FA0: 0AFCFD12
	v_mul_f32_e32 v127, v18, v127                              // 000000027FA4: 0AFEFF12
	v_mul_f32_dpp v112, v248, v112 quad_perm:[0,0,0,0] row_mask:0xf bank_mask:0xf// 000000027FA8: 0AE0E0FA FF0000F8
	v_mul_f32_dpp v113, v248, v113 quad_perm:[1,1,1,1] row_mask:0xf bank_mask:0xf// 000000027FB0: 0AE2E2FA FF0055F8
	v_mul_f32_dpp v114, v248, v114 quad_perm:[2,2,2,2] row_mask:0xf bank_mask:0xf// 000000027FB8: 0AE4E4FA FF00AAF8
	v_mul_f32_dpp v115, v248, v115 quad_perm:[3,3,3,3] row_mask:0xf bank_mask:0xf// 000000027FC0: 0AE6E6FA FF00FFF8
	v_mul_f32_dpp v116, v249, v116 quad_perm:[0,0,0,0] row_mask:0xf bank_mask:0xf// 000000027FC8: 0AE8E8FA FF0000F9
	v_mul_f32_dpp v117, v249, v117 quad_perm:[1,1,1,1] row_mask:0xf bank_mask:0xf// 000000027FD0: 0AEAEAFA FF0055F9
	v_mul_f32_dpp v118, v249, v118 quad_perm:[2,2,2,2] row_mask:0xf bank_mask:0xf// 000000027FD8: 0AECECFA FF00AAF9
	v_mul_f32_dpp v119, v249, v119 quad_perm:[3,3,3,3] row_mask:0xf bank_mask:0xf// 000000027FE0: 0AEEEEFA FF00FFF9
	v_mul_f32_dpp v120, v250, v120 quad_perm:[0,0,0,0] row_mask:0xf bank_mask:0xf// 000000027FE8: 0AF0F0FA FF0000FA
	v_mul_f32_dpp v121, v250, v121 quad_perm:[1,1,1,1] row_mask:0xf bank_mask:0xf// 000000027FF0: 0AF2F2FA FF0055FA
	v_mul_f32_dpp v122, v250, v122 quad_perm:[2,2,2,2] row_mask:0xf bank_mask:0xf// 000000027FF8: 0AF4F4FA FF00AAFA
	v_mul_f32_dpp v123, v250, v123 quad_perm:[3,3,3,3] row_mask:0xf bank_mask:0xf// 000000028000: 0AF6F6FA FF00FFFA
	v_mul_f32_dpp v124, v251, v124 quad_perm:[0,0,0,0] row_mask:0xf bank_mask:0xf// 000000028008: 0AF8F8FA FF0000FB
	v_mul_f32_dpp v125, v251, v125 quad_perm:[1,1,1,1] row_mask:0xf bank_mask:0xf// 000000028010: 0AFAFAFA FF0055FB
	v_mul_f32_dpp v126, v251, v126 quad_perm:[2,2,2,2] row_mask:0xf bank_mask:0xf// 000000028018: 0AFCFCFA FF00AAFB
	v_mul_f32_dpp v127, v251, v127 quad_perm:[3,3,3,3] row_mask:0xf bank_mask:0xf// 000000028020: 0AFEFEFA FF00FFFB
	s_cmp_le_i32 s90, s89                                      // 000000028028: BF05595A
	s_cbranch_scc1 label_97FD                                  // 00000002802C: BF850071
	v_mov_b32_e32 v66, 0xff800000                              // 000000028030: 7E8402FF FF800000
	s_mov_b32 s60, s90                                         // 000000028038: BEBC005A
	s_add_u32 s61, s89, 0xff                                   // 00000002803C: 803DFF59 000000FF
	v_mov_b32_e32 v64, s61                                     // 000000028044: 7E80023D
	v_lshrrev_b32_e32 v240, 4, v0                              // 000000028048: 21E00084
	v_mul_i32_i24_e32 v240, 4, v240                            // 00000002804C: 0DE1E084
	v_add_u32_e32 v240, s60, v240                              // 000000028050: 69E1E03C
	s_mov_b32 s61, 0                                           // 000000028054: BEBD0080
	s_mul_i32 s60, 16, s7                                      // 000000028058: 923C0790
	v_sub_u32_e64 v240, v240, s61                              // 00000002805C: D13500F0 00007BF0
	v_add_u32_e32 v240, s60, v240                              // 000000028064: 69E1E03C
	v_add_u32_e32 v241, 1, v240                                // 000000028068: 69E3E081
	v_add_u32_e32 v242, 2, v240                                // 00000002806C: 69E5E082
	v_add_u32_e32 v243, 3, v240                                // 000000028070: 69E7E083
	v_cmp_le_u32_e64 s[40:41], v240, v64                       // 000000028074: D0CB0028 000281F0
	v_add_u32_e32 v240, 64, v240                               // 00000002807C: 69E1E0C0
	s_nop 0                                                    // 000000028080: BF800000
	v_cndmask_b32_e64 v112, v66, v112, s[40:41]                // 000000028084: D1000070 00A2E142
	v_cmp_le_u32_e64 s[40:41], v241, v64                       // 00000002808C: D0CB0028 000281F1
	v_add_u32_e32 v241, 64, v241                               // 000000028094: 69E3E2C0
	s_nop 0                                                    // 000000028098: BF800000
	v_cndmask_b32_e64 v113, v66, v113, s[40:41]                // 00000002809C: D1000071 00A2E342
	v_cmp_le_u32_e64 s[40:41], v242, v64                       // 0000000280A4: D0CB0028 000281F2
	v_add_u32_e32 v242, 64, v242                               // 0000000280AC: 69E5E4C0
	s_nop 0                                                    // 0000000280B0: BF800000
	v_cndmask_b32_e64 v114, v66, v114, s[40:41]                // 0000000280B4: D1000072 00A2E542
	v_cmp_le_u32_e64 s[40:41], v243, v64                       // 0000000280BC: D0CB0028 000281F3
	v_add_u32_e32 v243, 64, v243                               // 0000000280C4: 69E7E6C0
	s_nop 0                                                    // 0000000280C8: BF800000
	v_cndmask_b32_e64 v115, v66, v115, s[40:41]                // 0000000280CC: D1000073 00A2E742
	v_cmp_le_u32_e64 s[40:41], v240, v64                       // 0000000280D4: D0CB0028 000281F0
	v_add_u32_e32 v240, 64, v240                               // 0000000280DC: 69E1E0C0
	s_nop 0                                                    // 0000000280E0: BF800000
	v_cndmask_b32_e64 v116, v66, v116, s[40:41]                // 0000000280E4: D1000074 00A2E942
	v_cmp_le_u32_e64 s[40:41], v241, v64                       // 0000000280EC: D0CB0028 000281F1
	v_add_u32_e32 v241, 64, v241                               // 0000000280F4: 69E3E2C0
	s_nop 0                                                    // 0000000280F8: BF800000
	v_cndmask_b32_e64 v117, v66, v117, s[40:41]                // 0000000280FC: D1000075 00A2EB42
	v_cmp_le_u32_e64 s[40:41], v242, v64                       // 000000028104: D0CB0028 000281F2
	v_add_u32_e32 v242, 64, v242                               // 00000002810C: 69E5E4C0
	s_nop 0                                                    // 000000028110: BF800000
	v_cndmask_b32_e64 v118, v66, v118, s[40:41]                // 000000028114: D1000076 00A2ED42
	v_cmp_le_u32_e64 s[40:41], v243, v64                       // 00000002811C: D0CB0028 000281F3
	v_add_u32_e32 v243, 64, v243                               // 000000028124: 69E7E6C0
	s_nop 0                                                    // 000000028128: BF800000
	v_cndmask_b32_e64 v119, v66, v119, s[40:41]                // 00000002812C: D1000077 00A2EF42
	v_cmp_le_u32_e64 s[40:41], v240, v64                       // 000000028134: D0CB0028 000281F0
	v_add_u32_e32 v240, 64, v240                               // 00000002813C: 69E1E0C0
	s_nop 0                                                    // 000000028140: BF800000
	v_cndmask_b32_e64 v120, v66, v120, s[40:41]                // 000000028144: D1000078 00A2F142
	v_cmp_le_u32_e64 s[40:41], v241, v64                       // 00000002814C: D0CB0028 000281F1
	v_add_u32_e32 v241, 64, v241                               // 000000028154: 69E3E2C0
	s_nop 0                                                    // 000000028158: BF800000
	v_cndmask_b32_e64 v121, v66, v121, s[40:41]                // 00000002815C: D1000079 00A2F342
	v_cmp_le_u32_e64 s[40:41], v242, v64                       // 000000028164: D0CB0028 000281F2
	v_add_u32_e32 v242, 64, v242                               // 00000002816C: 69E5E4C0
	s_nop 0                                                    // 000000028170: BF800000
	v_cndmask_b32_e64 v122, v66, v122, s[40:41]                // 000000028174: D100007A 00A2F542
	v_cmp_le_u32_e64 s[40:41], v243, v64                       // 00000002817C: D0CB0028 000281F3
	v_add_u32_e32 v243, 64, v243                               // 000000028184: 69E7E6C0
	s_nop 0                                                    // 000000028188: BF800000
	v_cndmask_b32_e64 v123, v66, v123, s[40:41]                // 00000002818C: D100007B 00A2F742
	v_cmp_le_u32_e64 s[40:41], v240, v64                       // 000000028194: D0CB0028 000281F0
	v_add_u32_e32 v240, 64, v240                               // 00000002819C: 69E1E0C0
	s_nop 0                                                    // 0000000281A0: BF800000
	v_cndmask_b32_e64 v124, v66, v124, s[40:41]                // 0000000281A4: D100007C 00A2F942
	v_cmp_le_u32_e64 s[40:41], v241, v64                       // 0000000281AC: D0CB0028 000281F1
	v_add_u32_e32 v241, 64, v241                               // 0000000281B4: 69E3E2C0
	s_nop 0                                                    // 0000000281B8: BF800000
	v_cndmask_b32_e64 v125, v66, v125, s[40:41]                // 0000000281BC: D100007D 00A2FB42
	v_cmp_le_u32_e64 s[40:41], v242, v64                       // 0000000281C4: D0CB0028 000281F2
	v_add_u32_e32 v242, 64, v242                               // 0000000281CC: 69E5E4C0
	s_nop 0                                                    // 0000000281D0: BF800000
	v_cndmask_b32_e64 v126, v66, v126, s[40:41]                // 0000000281D4: D100007E 00A2FD42
	v_cmp_le_u32_e64 s[40:41], v243, v64                       // 0000000281DC: D0CB0028 000281F3
	v_add_u32_e32 v243, 64, v243                               // 0000000281E4: 69E7E6C0
	s_nop 0                                                    // 0000000281E8: BF800000
	v_cndmask_b32_e64 v127, v66, v127, s[40:41]                // 0000000281EC: D100007F 00A2FF42

00000000000281f4 <label_97FD>:
	s_and_b32 s60, s72, 0xff                                   // 0000000281F4: 863CFF48 000000FF
	v_mov_b32_e32 v65, s60                                     // 0000000281FC: 7E82023C
	v_lshrrev_b32_e32 v240, 4, v0                              // 000000028200: 21E00084
	v_mul_i32_i24_e32 v240, 4, v240                            // 000000028204: 0DE1E084
	s_mul_i32 s60, s7, 16                                      // 000000028208: 923C9007
	v_add_u32_e32 v240, s60, v240                              // 00000002820C: 69E1E03C
	v_add_u32_e32 v241, 1, v240                                // 000000028210: 69E3E081
	v_add_u32_e32 v242, 2, v240                                // 000000028214: 69E5E082
	v_add_u32_e32 v243, 3, v240                                // 000000028218: 69E7E083
	v_mov_b32_e32 v64, 0xff800000                              // 00000002821C: 7E8002FF FF800000
	v_cmp_lt_u32_e64 s[40:41], v240, v65                       // 000000028224: D0C90028 000283F0
	v_add_u32_e32 v240, 64, v240                               // 00000002822C: 69E1E0C0
	s_nop 0                                                    // 000000028230: BF800000
	v_cndmask_b32_e64 v112, v64, v112, s[40:41]                // 000000028234: D1000070 00A2E140
	v_cmp_lt_u32_e64 s[40:41], v241, v65                       // 00000002823C: D0C90028 000283F1
	v_add_u32_e32 v241, 64, v241                               // 000000028244: 69E3E2C0
	s_nop 0                                                    // 000000028248: BF800000
	v_cndmask_b32_e64 v113, v64, v113, s[40:41]                // 00000002824C: D1000071 00A2E340
	v_cmp_lt_u32_e64 s[40:41], v242, v65                       // 000000028254: D0C90028 000283F2
	v_add_u32_e32 v242, 64, v242                               // 00000002825C: 69E5E4C0
	s_nop 0                                                    // 000000028260: BF800000
	v_cndmask_b32_e64 v114, v64, v114, s[40:41]                // 000000028264: D1000072 00A2E540
	v_cmp_lt_u32_e64 s[40:41], v243, v65                       // 00000002826C: D0C90028 000283F3
	v_add_u32_e32 v243, 64, v243                               // 000000028274: 69E7E6C0
	s_nop 0                                                    // 000000028278: BF800000
	v_cndmask_b32_e64 v115, v64, v115, s[40:41]                // 00000002827C: D1000073 00A2E740
	v_cmp_lt_u32_e64 s[40:41], v240, v65                       // 000000028284: D0C90028 000283F0
	v_add_u32_e32 v240, 64, v240                               // 00000002828C: 69E1E0C0
	s_nop 0                                                    // 000000028290: BF800000
	v_cndmask_b32_e64 v116, v64, v116, s[40:41]                // 000000028294: D1000074 00A2E940
	v_cmp_lt_u32_e64 s[40:41], v241, v65                       // 00000002829C: D0C90028 000283F1
	v_add_u32_e32 v241, 64, v241                               // 0000000282A4: 69E3E2C0
	s_nop 0                                                    // 0000000282A8: BF800000
	v_cndmask_b32_e64 v117, v64, v117, s[40:41]                // 0000000282AC: D1000075 00A2EB40
	v_cmp_lt_u32_e64 s[40:41], v242, v65                       // 0000000282B4: D0C90028 000283F2
	v_add_u32_e32 v242, 64, v242                               // 0000000282BC: 69E5E4C0
	s_nop 0                                                    // 0000000282C0: BF800000
	v_cndmask_b32_e64 v118, v64, v118, s[40:41]                // 0000000282C4: D1000076 00A2ED40
	v_cmp_lt_u32_e64 s[40:41], v243, v65                       // 0000000282CC: D0C90028 000283F3
	v_add_u32_e32 v243, 64, v243                               // 0000000282D4: 69E7E6C0
	s_nop 0                                                    // 0000000282D8: BF800000
	v_cndmask_b32_e64 v119, v64, v119, s[40:41]                // 0000000282DC: D1000077 00A2EF40
	v_cmp_lt_u32_e64 s[40:41], v240, v65                       // 0000000282E4: D0C90028 000283F0
	v_add_u32_e32 v240, 64, v240                               // 0000000282EC: 69E1E0C0
	s_nop 0                                                    // 0000000282F0: BF800000
	v_cndmask_b32_e64 v120, v64, v120, s[40:41]                // 0000000282F4: D1000078 00A2F140
	v_cmp_lt_u32_e64 s[40:41], v241, v65                       // 0000000282FC: D0C90028 000283F1
	v_add_u32_e32 v241, 64, v241                               // 000000028304: 69E3E2C0
	s_nop 0                                                    // 000000028308: BF800000
	v_cndmask_b32_e64 v121, v64, v121, s[40:41]                // 00000002830C: D1000079 00A2F340
	v_cmp_lt_u32_e64 s[40:41], v242, v65                       // 000000028314: D0C90028 000283F2
	v_add_u32_e32 v242, 64, v242                               // 00000002831C: 69E5E4C0
	s_nop 0                                                    // 000000028320: BF800000
	v_cndmask_b32_e64 v122, v64, v122, s[40:41]                // 000000028324: D100007A 00A2F540
	v_cmp_lt_u32_e64 s[40:41], v243, v65                       // 00000002832C: D0C90028 000283F3
	v_add_u32_e32 v243, 64, v243                               // 000000028334: 69E7E6C0
	s_nop 0                                                    // 000000028338: BF800000
	v_cndmask_b32_e64 v123, v64, v123, s[40:41]                // 00000002833C: D100007B 00A2F740
	v_cmp_lt_u32_e64 s[40:41], v240, v65                       // 000000028344: D0C90028 000283F0
	v_add_u32_e32 v240, 64, v240                               // 00000002834C: 69E1E0C0
	s_nop 0                                                    // 000000028350: BF800000
	v_cndmask_b32_e64 v124, v64, v124, s[40:41]                // 000000028354: D100007C 00A2F940
	v_cmp_lt_u32_e64 s[40:41], v241, v65                       // 00000002835C: D0C90028 000283F1
	v_add_u32_e32 v241, 64, v241                               // 000000028364: 69E3E2C0
	s_nop 0                                                    // 000000028368: BF800000
	v_cndmask_b32_e64 v125, v64, v125, s[40:41]                // 00000002836C: D100007D 00A2FB40
	v_cmp_lt_u32_e64 s[40:41], v242, v65                       // 000000028374: D0C90028 000283F2
	v_add_u32_e32 v242, 64, v242                               // 00000002837C: 69E5E4C0
	s_nop 0                                                    // 000000028380: BF800000
	v_cndmask_b32_e64 v126, v64, v126, s[40:41]                // 000000028384: D100007E 00A2FD40
	v_cmp_lt_u32_e64 s[40:41], v243, v65                       // 00000002838C: D0C90028 000283F3
	v_add_u32_e32 v243, 64, v243                               // 000000028394: 69E7E6C0
	s_nop 0                                                    // 000000028398: BF800000
	v_cndmask_b32_e64 v127, v64, v127, s[40:41]                // 00000002839C: D100007F 00A2FF40
	v_mov_b32_e32 v48, v112                                    // 0000000283A4: 7E600370
	v_max3_f32 v48, v112, v113, v48                            // 0000000283A8: D1D30030 04C2E370
	v_max3_f32 v48, v114, v115, v48                            // 0000000283B0: D1D30030 04C2E772
	v_max3_f32 v48, v116, v117, v48                            // 0000000283B8: D1D30030 04C2EB74
	v_max3_f32 v48, v118, v119, v48                            // 0000000283C0: D1D30030 04C2EF76
	v_max3_f32 v48, v120, v121, v48                            // 0000000283C8: D1D30030 04C2F378
	v_max3_f32 v48, v122, v123, v48                            // 0000000283D0: D1D30030 04C2F77A
	v_max3_f32 v48, v124, v125, v48                            // 0000000283D8: D1D30030 04C2FB7C
	v_max3_f32 v48, v126, v127, v48                            // 0000000283E0: D1D30030 04C2FF7E
	ds_write_b32 v8, v48 offset:16896                          // 0000000283E8: D81A4200 00003008
	v_mul_u32_u24_dpp v64, v17, v54 row_newbcast:1 row_mask:0xf bank_mask:0xf// 0000000283F0: 10806CFA FF015111
	v_mul_u32_u24_dpp v65, v17, v54 row_newbcast:5 row_mask:0xf bank_mask:0xf// 0000000283F8: 10826CFA FF015511
	v_mul_u32_u24_dpp v66, v17, v54 row_newbcast:9 row_mask:0xf bank_mask:0xf// 000000028400: 10846CFA FF015911
	v_mul_u32_u24_dpp v67, v17, v54 row_newbcast:13 row_mask:0xf bank_mask:0xf// 000000028408: 10866CFA FF015D11
	v_add_u32_e32 v34, v64, v6                                 // 000000028410: 68440D40
	v_add_u32_e32 v35, v65, v6                                 // 000000028414: 68460D41
	v_add_u32_e32 v36, v66, v6                                 // 000000028418: 68480D42
	v_add_u32_e32 v37, v67, v6                                 // 00000002841C: 684A0D43
	v_mul_f32_e32 v208, v49, v208                              // 000000028420: 0BA1A131
	v_mul_f32_e32 v209, v49, v209                              // 000000028424: 0BA3A331
	v_mul_f32_e32 v210, v49, v210                              // 000000028428: 0BA5A531
	v_mul_f32_e32 v211, v49, v211                              // 00000002842C: 0BA7A731
	v_mul_f32_e32 v212, v49, v212                              // 000000028430: 0BA9A931
	v_mul_f32_e32 v213, v49, v213                              // 000000028434: 0BABAB31
	v_mul_f32_e32 v214, v49, v214                              // 000000028438: 0BADAD31
	v_mul_f32_e32 v215, v49, v215                              // 00000002843C: 0BAFAF31
	s_waitcnt lgkmcnt(0)                                       // 000000028440: BF8CC07F
	s_barrier                                                  // 000000028444: BF8A0000
	ds_read_b32 v64, v7 offset:16896                           // 000000028448: D86C4200 40000007
	ds_read_b32 v65, v7 offset:16960                           // 000000028450: D86C4240 41000007
	ds_read_b32 v66, v7 offset:17024                           // 000000028458: D86C4280 42000007
	ds_read_b32 v67, v7 offset:17088                           // 000000028460: D86C42C0 43000007
	ds_read_b32 v68, v7 offset:17152                           // 000000028468: D86C4300 44000007
	ds_read_b32 v69, v7 offset:17216                           // 000000028470: D86C4340 45000007
	ds_read_b32 v70, v7 offset:17280                           // 000000028478: D86C4380 46000007
	ds_read_b32 v71, v7 offset:17344                           // 000000028480: D86C43C0 47000007
	ds_read_b32 v72, v7 offset:17408                           // 000000028488: D86C4400 48000007
	ds_read_b32 v73, v7 offset:17472                           // 000000028490: D86C4440 49000007
	ds_read_b32 v74, v7 offset:17536                           // 000000028498: D86C4480 4A000007
	ds_read_b32 v75, v7 offset:17600                           // 0000000284A0: D86C44C0 4B000007
	ds_read_b32 v76, v7 offset:17664                           // 0000000284A8: D86C4500 4C000007
	ds_read_b32 v77, v7 offset:17728                           // 0000000284B0: D86C4540 4D000007
	ds_read_b32 v78, v7 offset:17792                           // 0000000284B8: D86C4580 4E000007
	ds_read_b32 v79, v7 offset:17856                           // 0000000284C0: D86C45C0 4F000007
	v_mul_f32_e32 v176, v44, v176                              // 0000000284C8: 0B61612C
	v_mul_f32_e32 v177, v44, v177                              // 0000000284CC: 0B63632C
	v_mul_f32_e32 v178, v44, v178                              // 0000000284D0: 0B65652C
	v_mul_f32_e32 v179, v44, v179                              // 0000000284D4: 0B67672C
	v_mul_f32_e32 v180, v44, v180                              // 0000000284D8: 0B69692C
	v_mul_f32_e32 v181, v44, v181                              // 0000000284DC: 0B6B6B2C
	v_mul_f32_e32 v182, v44, v182                              // 0000000284E0: 0B6D6D2C
	v_mul_f32_e32 v183, v44, v183                              // 0000000284E4: 0B6F6F2C
	s_waitcnt lgkmcnt(0)                                       // 0000000284E8: BF8CC07F
	v_max3_f32 v48, v64, v65, v48                              // 0000000284EC: D1D30030 04C28340
	v_max3_f32 v48, v66, v67, v48                              // 0000000284F4: D1D30030 04C28742
	v_max3_f32 v48, v68, v69, v48                              // 0000000284FC: D1D30030 04C28B44
	v_max3_f32 v48, v70, v71, v48                              // 000000028504: D1D30030 04C28F46
	v_max3_f32 v48, v72, v73, v48                              // 00000002850C: D1D30030 04C29348
	v_max3_f32 v48, v74, v75, v48                              // 000000028514: D1D30030 04C2974A
	v_max3_f32 v48, v76, v77, v48                              // 00000002851C: D1D30030 04C29B4C
	v_max3_f32 v48, v78, v79, v48                              // 000000028524: D1D30030 04C29F4E
	v_mov_b32_e32 v64, 0xff800000                              // 00000002852C: 7E8002FF FF800000
	v_cmp_eq_u32_e64 s[40:41], v64, v11                        // 000000028534: D0CA0028 00021740
	s_nop 1                                                    // 00000002853C: BF800001
	v_max_f32_e32 v15, v48, v11                                // 000000028540: 161E1730
	v_mul_f32_e32 v53, s64, v15                                // 000000028544: 0A6A1E40
	v_fma_f32 v112, v112, s64, -v53                            // 000000028548: D1CB0070 84D48170
	v_fma_f32 v113, v113, s64, -v53                            // 000000028550: D1CB0071 84D48171
	v_fma_f32 v114, v114, s64, -v53                            // 000000028558: D1CB0072 84D48172
	v_fma_f32 v115, v115, s64, -v53                            // 000000028560: D1CB0073 84D48173
	v_fma_f32 v116, v116, s64, -v53                            // 000000028568: D1CB0074 84D48174
	v_fma_f32 v117, v117, s64, -v53                            // 000000028570: D1CB0075 84D48175
	v_fma_f32 v118, v118, s64, -v53                            // 000000028578: D1CB0076 84D48176
	v_fma_f32 v119, v119, s64, -v53                            // 000000028580: D1CB0077 84D48177
	v_fma_f32 v120, v120, s64, -v53                            // 000000028588: D1CB0078 84D48178
	v_fma_f32 v121, v121, s64, -v53                            // 000000028590: D1CB0079 84D48179
	v_fma_f32 v122, v122, s64, -v53                            // 000000028598: D1CB007A 84D4817A
	v_fma_f32 v123, v123, s64, -v53                            // 0000000285A0: D1CB007B 84D4817B
	v_fma_f32 v124, v124, s64, -v53                            // 0000000285A8: D1CB007C 84D4817C
	v_fma_f32 v125, v125, s64, -v53                            // 0000000285B0: D1CB007D 84D4817D
	v_fma_f32 v126, v126, s64, -v53                            // 0000000285B8: D1CB007E 84D4817E
	v_fma_f32 v127, v127, s64, -v53                            // 0000000285C0: D1CB007F 84D4817F
	v_exp_f32_e32 v112, v112                                   // 0000000285C8: 7EE04170
	v_exp_f32_e32 v113, v113                                   // 0000000285CC: 7EE24171
	v_exp_f32_e32 v114, v114                                   // 0000000285D0: 7EE44172
	v_exp_f32_e32 v115, v115                                   // 0000000285D4: 7EE64173
	v_exp_f32_e32 v116, v116                                   // 0000000285D8: 7EE84174
	v_exp_f32_e32 v117, v117                                   // 0000000285DC: 7EEA4175
	v_exp_f32_e32 v118, v118                                   // 0000000285E0: 7EEC4176
	v_exp_f32_e32 v119, v119                                   // 0000000285E4: 7EEE4177
	v_exp_f32_e32 v120, v120                                   // 0000000285E8: 7EF04178
	v_exp_f32_e32 v121, v121                                   // 0000000285EC: 7EF24179
	v_exp_f32_e32 v122, v122                                   // 0000000285F0: 7EF4417A
	v_exp_f32_e32 v123, v123                                   // 0000000285F4: 7EF6417B
	v_exp_f32_e32 v124, v124                                   // 0000000285F8: 7EF8417C
	v_exp_f32_e32 v125, v125                                   // 0000000285FC: 7EFA417D
	v_exp_f32_e32 v126, v126                                   // 000000028600: 7EFC417E
	v_exp_f32_e32 v127, v127                                   // 000000028604: 7EFE417F
	v_mul_f32_dpp v240, v252, v112 quad_perm:[0,0,0,0] row_mask:0xf bank_mask:0xf// 000000028608: 0BE0E0FA FF0000FC
	v_mul_f32_dpp v241, v252, v113 quad_perm:[1,1,1,1] row_mask:0xf bank_mask:0xf// 000000028610: 0BE2E2FA FF0055FC
	v_mul_f32_dpp v242, v252, v114 quad_perm:[2,2,2,2] row_mask:0xf bank_mask:0xf// 000000028618: 0BE4E4FA FF00AAFC
	v_mul_f32_dpp v243, v252, v115 quad_perm:[3,3,3,3] row_mask:0xf bank_mask:0xf// 000000028620: 0BE6E6FA FF00FFFC
	v_mul_f32_dpp v244, v253, v116 quad_perm:[0,0,0,0] row_mask:0xf bank_mask:0xf// 000000028628: 0BE8E8FA FF0000FD
	v_mul_f32_dpp v245, v253, v117 quad_perm:[1,1,1,1] row_mask:0xf bank_mask:0xf// 000000028630: 0BEAEAFA FF0055FD
	v_mul_f32_dpp v246, v253, v118 quad_perm:[2,2,2,2] row_mask:0xf bank_mask:0xf// 000000028638: 0BECECFA FF00AAFD
	v_mul_f32_dpp v247, v253, v119 quad_perm:[3,3,3,3] row_mask:0xf bank_mask:0xf// 000000028640: 0BEEEEFA FF00FFFD
	v_mul_f32_dpp v248, v254, v120 quad_perm:[0,0,0,0] row_mask:0xf bank_mask:0xf// 000000028648: 0BF0F0FA FF0000FE
	v_mul_f32_dpp v249, v254, v121 quad_perm:[1,1,1,1] row_mask:0xf bank_mask:0xf// 000000028650: 0BF2F2FA FF0055FE
	v_mul_f32_dpp v250, v254, v122 quad_perm:[2,2,2,2] row_mask:0xf bank_mask:0xf// 000000028658: 0BF4F4FA FF00AAFE
	v_mul_f32_dpp v251, v254, v123 quad_perm:[3,3,3,3] row_mask:0xf bank_mask:0xf// 000000028660: 0BF6F6FA FF00FFFE
	v_mul_f32_dpp v252, v255, v124 quad_perm:[0,0,0,0] row_mask:0xf bank_mask:0xf// 000000028668: 0BF8F8FA FF0000FF
	v_mul_f32_dpp v253, v255, v125 quad_perm:[1,1,1,1] row_mask:0xf bank_mask:0xf// 000000028670: 0BFAFAFA FF0055FF
	v_mul_f32_dpp v254, v255, v126 quad_perm:[2,2,2,2] row_mask:0xf bank_mask:0xf// 000000028678: 0BFCFCFA FF00AAFF
	v_mul_f32_dpp v255, v255, v127 quad_perm:[3,3,3,3] row_mask:0xf bank_mask:0xf// 000000028680: 0BFEFEFA FF00FFFF
	v_mov_b32_e32 v48, 0x358637bd                              // 000000028688: 7E6002FF 358637BD
	v_max3_f32 v48, |v240|, |v241|, v48                        // 000000028690: D1D30330 04C3E3F0
	v_max3_f32 v48, |v242|, |v243|, v48                        // 000000028698: D1D30330 04C3E7F2
	v_max3_f32 v48, |v244|, |v245|, v48                        // 0000000286A0: D1D30330 04C3EBF4
	v_max3_f32 v48, |v246|, |v247|, v48                        // 0000000286A8: D1D30330 04C3EFF6
	v_max3_f32 v48, |v248|, |v249|, v48                        // 0000000286B0: D1D30330 04C3F3F8
	v_max3_f32 v48, |v250|, |v251|, v48                        // 0000000286B8: D1D30330 04C3F7FA
	v_max3_f32 v48, |v252|, |v253|, v48                        // 0000000286C0: D1D30330 04C3FBFC
	v_max3_f32 v48, |v254|, |v255|, v48                        // 0000000286C8: D1D30330 04C3FFFE
	ds_write_b32 v8, v48 offset:20992                          // 0000000286D0: D81A5200 00003008
	v_sub_f32_e32 v49, v11, v15                                // 0000000286D8: 04621F0B
	v_cndmask_b32_e64 v49, v49, 0, s[40:41]                    // 0000000286DC: D1000031 00A10131
	v_mov_b32_e32 v11, v15                                     // 0000000286E4: 7E16030F
	v_mul_f32_e32 v49, s64, v49                                // 0000000286E8: 0A626240
	v_exp_f32_e32 v49, v49                                     // 0000000286EC: 7E624131
	s_waitcnt lgkmcnt(0)                                       // 0000000286F0: BF8CC07F
	s_barrier                                                  // 0000000286F4: BF8A0000
	ds_read_b32 v64, v7 offset:20992                           // 0000000286F8: D86C5200 40000007
	ds_read_b32 v65, v7 offset:21056                           // 000000028700: D86C5240 41000007
	ds_read_b32 v66, v7 offset:21120                           // 000000028708: D86C5280 42000007
	ds_read_b32 v67, v7 offset:21184                           // 000000028710: D86C52C0 43000007
	ds_read_b32 v68, v7 offset:21248                           // 000000028718: D86C5300 44000007
	ds_read_b32 v69, v7 offset:21312                           // 000000028720: D86C5340 45000007
	ds_read_b32 v70, v7 offset:21376                           // 000000028728: D86C5380 46000007
	ds_read_b32 v71, v7 offset:21440                           // 000000028730: D86C53C0 47000007
	ds_read_b32 v72, v7 offset:21504                           // 000000028738: D86C5400 48000007
	ds_read_b32 v73, v7 offset:21568                           // 000000028740: D86C5440 49000007
	ds_read_b32 v74, v7 offset:21632                           // 000000028748: D86C5480 4A000007
	ds_read_b32 v75, v7 offset:21696                           // 000000028750: D86C54C0 4B000007
	ds_read_b32 v76, v7 offset:21760                           // 000000028758: D86C5500 4C000007
	ds_read_b32 v77, v7 offset:21824                           // 000000028760: D86C5540 4D000007
	ds_read_b32 v78, v7 offset:21888                           // 000000028768: D86C5580 4E000007
	ds_read_b32 v79, v7 offset:21952                           // 000000028770: D86C55C0 4F000007
	v_mul_f32_e32 v38, v49, v38                                // 000000028778: 0A4C4D31
	v_mov_b32_e32 v15, v112                                    // 00000002877C: 7E1E0370
	v_add_f32_e32 v15, v113, v15                               // 000000028780: 021E1F71
	v_add_f32_e32 v15, v114, v15                               // 000000028784: 021E1F72
	v_add_f32_e32 v15, v115, v15                               // 000000028788: 021E1F73
	v_add_f32_e32 v15, v116, v15                               // 00000002878C: 021E1F74
	v_add_f32_e32 v15, v117, v15                               // 000000028790: 021E1F75
	v_add_f32_e32 v15, v118, v15                               // 000000028794: 021E1F76
	v_add_f32_e32 v15, v119, v15                               // 000000028798: 021E1F77
	v_add_f32_e32 v15, v120, v15                               // 00000002879C: 021E1F78
	v_add_f32_e32 v15, v121, v15                               // 0000000287A0: 021E1F79
	v_add_f32_e32 v15, v122, v15                               // 0000000287A4: 021E1F7A
	v_add_f32_e32 v15, v123, v15                               // 0000000287A8: 021E1F7B
	v_add_f32_e32 v15, v124, v15                               // 0000000287AC: 021E1F7C
	v_add_f32_e32 v15, v125, v15                               // 0000000287B0: 021E1F7D
	v_add_f32_e32 v15, v126, v15                               // 0000000287B4: 021E1F7E
	v_add_f32_e32 v15, v127, v15                               // 0000000287B8: 021E1F7F
	v_add_f32_e32 v38, v15, v38                                // 0000000287BC: 024C4D0F
	s_waitcnt lgkmcnt(0)                                       // 0000000287C0: BF8CC07F
	v_max3_f32 v48, |v64|, |v65|, v48                          // 0000000287C4: D1D30330 04C28340
	v_max3_f32 v48, |v66|, |v67|, v48                          // 0000000287CC: D1D30330 04C28742
	v_max3_f32 v48, |v68|, |v69|, v48                          // 0000000287D4: D1D30330 04C28B44
	v_max3_f32 v48, |v70|, |v71|, v48                          // 0000000287DC: D1D30330 04C28F46
	v_max3_f32 v48, |v72|, |v73|, v48                          // 0000000287E4: D1D30330 04C29348
	v_max3_f32 v48, |v74|, |v75|, v48                          // 0000000287EC: D1D30330 04C2974A
	v_max3_f32 v48, |v76|, |v77|, v48                          // 0000000287F4: D1D30330 04C29B4C
	v_max3_f32 v48, |v78|, |v79|, v48                          // 0000000287FC: D1D30330 04C29F4E
	s_nop 2                                                    // 000000028804: BF800002
	v_rcp_f32_e32 v48, v48                                     // 000000028808: 7E604530
	s_nop 1                                                    // 00000002880C: BF800001
	v_mul_f32_e32 v48, 0x43700000, v48                         // 000000028810: 0A6060FF 43700000
	v_mul_f32_e32 v112, v48, v240                              // 000000028818: 0AE1E130
	v_mul_f32_e32 v113, v48, v241                              // 00000002881C: 0AE3E330
	v_mul_f32_e32 v114, v48, v242                              // 000000028820: 0AE5E530
	v_mul_f32_e32 v115, v48, v243                              // 000000028824: 0AE7E730
	v_mul_f32_e32 v116, v48, v244                              // 000000028828: 0AE9E930
	v_mul_f32_e32 v117, v48, v245                              // 00000002882C: 0AEBEB30
	v_mul_f32_e32 v118, v48, v246                              // 000000028830: 0AEDED30
	v_mul_f32_e32 v119, v48, v247                              // 000000028834: 0AEFEF30
	v_mul_f32_e32 v120, v48, v248                              // 000000028838: 0AF1F130
	v_mul_f32_e32 v121, v48, v249                              // 00000002883C: 0AF3F330
	v_mul_f32_e32 v122, v48, v250                              // 000000028840: 0AF5F530
	v_mul_f32_e32 v123, v48, v251                              // 000000028844: 0AF7F730
	v_mul_f32_e32 v124, v48, v252                              // 000000028848: 0AF9F930
	v_mul_f32_e32 v125, v48, v253                              // 00000002884C: 0AFBFB30
	v_mul_f32_e32 v126, v48, v254                              // 000000028850: 0AFDFD30
	v_mul_f32_e32 v127, v48, v255                              // 000000028854: 0AFFFF30
	v_cvt_pk_fp8_f32 v112, v112, v113                          // 000000028858: D2A20070 0002E370
	v_cvt_pk_fp8_f32 v112, v114, v115 op_sel:[0,0,1]           // 000000028860: D2A24070 0002E772
	v_cvt_pk_fp8_f32 v113, v116, v117                          // 000000028868: D2A20071 0002EB74
	v_cvt_pk_fp8_f32 v113, v118, v119 op_sel:[0,0,1]           // 000000028870: D2A24071 0002EF76
	v_cvt_pk_fp8_f32 v114, v120, v121                          // 000000028878: D2A20072 0002F378
	v_cvt_pk_fp8_f32 v114, v122, v123 op_sel:[0,0,1]           // 000000028880: D2A24072 0002F77A
	v_cvt_pk_fp8_f32 v115, v124, v125                          // 000000028888: D2A20073 0002FB7C
	v_cvt_pk_fp8_f32 v115, v126, v127 op_sel:[0,0,1]           // 000000028890: D2A24073 0002FF7E
	ds_write_b32 v10, v112 offset:25088                        // 000000028898: D81A6200 0000700A
	ds_write_b32 v10, v113 offset:26112                        // 0000000288A0: D81A6600 0000710A
	ds_write_b32 v10, v114 offset:27136                        // 0000000288A8: D81A6A00 0000720A
	ds_write_b32 v10, v115 offset:28160                        // 0000000288B0: D81A6E00 0000730A
	v_add_f32_e32 v208, v208, v176                             // 0000000288B8: 03A161D0
	v_add_f32_e32 v209, v209, v177                             // 0000000288BC: 03A363D1
	v_add_f32_e32 v210, v210, v178                             // 0000000288C0: 03A565D2
	v_add_f32_e32 v211, v211, v179                             // 0000000288C4: 03A767D3
	v_add_f32_e32 v212, v212, v180                             // 0000000288C8: 03A969D4
	v_add_f32_e32 v213, v213, v181                             // 0000000288CC: 03AB6BD5
	v_add_f32_e32 v214, v214, v182                             // 0000000288D0: 03AD6DD6
	v_add_f32_e32 v215, v215, v183                             // 0000000288D4: 03AF6FD7
	v_rcp_f32_e32 v44, v48                                     // 0000000288D8: 7E584530
	s_waitcnt lgkmcnt(0)                                       // 0000000288DC: BF8CC07F
	s_barrier                                                  // 0000000288E0: BF8A0000
	ds_read_b64 v[112:113], v9 offset:25088                    // 0000000288E4: D8EC6200 70000009
	ds_read_b64 v[114:115], v9 offset:25216                    // 0000000288EC: D8EC6280 72000009
	ds_read_b64 v[116:117], v9 offset:26112                    // 0000000288F4: D8EC6600 74000009
	ds_read_b64 v[118:119], v9 offset:26240                    // 0000000288FC: D8EC6680 76000009
	ds_read_b64 v[120:121], v9 offset:27136                    // 000000028904: D8EC6A00 78000009
	ds_read_b64 v[122:123], v9 offset:27264                    // 00000002890C: D8EC6A80 7A000009
	ds_read_b64 v[124:125], v9 offset:28160                    // 000000028914: D8EC6E00 7C000009
	ds_read_b64 v[126:127], v9 offset:28288                    // 00000002891C: D8EC6E80 7E000009
	v_mov_b32_dpp v64, v42 row_shr:4 row_mask:0xf bank_mask:0xf// 000000028924: 7E8002FA FF01142A
	v_mov_b32_dpp v65, v42 row_shl:4 row_mask:0xf bank_mask:0xf// 00000002892C: 7E8202FA FF01042A
	v_cndmask_b32_e64 v248, v42, v64, s[44:45]                 // 000000028934: D10000F8 00B2812A
	v_cndmask_b32_e64 v249, v65, v42, s[44:45]                 // 00000002893C: D10000F9 00B25541
	v_mov_b32_dpp v64, v248 row_shr:8 row_mask:0xf bank_mask:0xf// 000000028944: 7E8002FA FF0118F8
	v_mov_b32_dpp v65, v248 row_shl:8 row_mask:0xf bank_mask:0xf// 00000002894C: 7E8202FA FF0108F8
	v_mov_b32_dpp v66, v249 row_shr:8 row_mask:0xf bank_mask:0xf// 000000028954: 7E8402FA FF0118F9
	v_mov_b32_dpp v67, v249 row_shl:8 row_mask:0xf bank_mask:0xf// 00000002895C: 7E8602FA FF0108F9
	v_mov_b32_e32 v68, v248                                    // 000000028964: 7E8803F8
	v_mov_b32_e32 v69, v249                                    // 000000028968: 7E8A03F9
	v_cndmask_b32_e64 v248, v68, v64, s[42:43]                 // 00000002896C: D10000F8 00AA8144
	v_cndmask_b32_e64 v250, v68, v65, s[78:79]                 // 000000028974: D10000FA 013A8344
	v_cndmask_b32_e64 v249, v69, v66, s[42:43]                 // 00000002897C: D10000F9 00AA8545
	v_cndmask_b32_e64 v251, v69, v67, s[78:79]                 // 000000028984: D10000FB 013A8745
	v_mov_b32_dpp v64, v57 row_shr:4 row_mask:0xf bank_mask:0xf// 00000002898C: 7E8002FA FF011439
	v_mov_b32_dpp v65, v57 row_shl:4 row_mask:0xf bank_mask:0xf// 000000028994: 7E8202FA FF010439
	v_cndmask_b32_e64 v252, v57, v64, s[44:45]                 // 00000002899C: D10000FC 00B28139
	v_cndmask_b32_e64 v253, v65, v57, s[44:45]                 // 0000000289A4: D10000FD 00B27341
	v_mov_b32_dpp v64, v252 row_shr:8 row_mask:0xf bank_mask:0xf// 0000000289AC: 7E8002FA FF0118FC
	v_mov_b32_dpp v65, v252 row_shl:8 row_mask:0xf bank_mask:0xf// 0000000289B4: 7E8202FA FF0108FC
	v_mov_b32_dpp v66, v253 row_shr:8 row_mask:0xf bank_mask:0xf// 0000000289BC: 7E8402FA FF0118FD
	v_mov_b32_dpp v67, v253 row_shl:8 row_mask:0xf bank_mask:0xf// 0000000289C4: 7E8602FA FF0108FD
	v_mov_b32_e32 v68, v252                                    // 0000000289CC: 7E8803FC
	v_mov_b32_e32 v69, v253                                    // 0000000289D0: 7E8A03FD
	v_cndmask_b32_e64 v252, v68, v64, s[42:43]                 // 0000000289D4: D10000FC 00AA8144
	v_cndmask_b32_e64 v254, v68, v65, s[78:79]                 // 0000000289DC: D10000FE 013A8344
	v_cndmask_b32_e64 v253, v69, v66, s[42:43]                 // 0000000289E4: D10000FD 00AA8545
	v_cndmask_b32_e64 v255, v69, v67, s[78:79]                 // 0000000289EC: D10000FF 013A8745
	v_mul_f32_e32 v128, v19, v128                              // 0000000289F4: 0B010113
	v_mul_f32_e32 v129, v19, v129                              // 0000000289F8: 0B030313
	v_mul_f32_e32 v130, v19, v130                              // 0000000289FC: 0B050513
	v_mul_f32_e32 v131, v19, v131                              // 000000028A00: 0B070713
	v_mul_f32_e32 v132, v19, v132                              // 000000028A04: 0B090913
	v_mul_f32_e32 v133, v19, v133                              // 000000028A08: 0B0B0B13
	v_mul_f32_e32 v134, v19, v134                              // 000000028A0C: 0B0D0D13
	v_mul_f32_e32 v135, v19, v135                              // 000000028A10: 0B0F0F13
	v_mul_f32_e32 v136, v19, v136                              // 000000028A14: 0B111113
	v_mul_f32_e32 v137, v19, v137                              // 000000028A18: 0B131313
	v_mul_f32_e32 v138, v19, v138                              // 000000028A1C: 0B151513
	v_mul_f32_e32 v139, v19, v139                              // 000000028A20: 0B171713
	v_mul_f32_e32 v140, v19, v140                              // 000000028A24: 0B191913
	v_mul_f32_e32 v141, v19, v141                              // 000000028A28: 0B1B1B13
	v_mul_f32_e32 v142, v19, v142                              // 000000028A2C: 0B1D1D13
	v_mul_f32_e32 v143, v19, v143                              // 000000028A30: 0B1F1F13
	v_mul_f32_dpp v128, v248, v128 quad_perm:[0,0,0,0] row_mask:0xf bank_mask:0xf// 000000028A34: 0B0100FA FF0000F8
	v_mul_f32_dpp v129, v248, v129 quad_perm:[1,1,1,1] row_mask:0xf bank_mask:0xf// 000000028A3C: 0B0302FA FF0055F8
	v_mul_f32_dpp v130, v248, v130 quad_perm:[2,2,2,2] row_mask:0xf bank_mask:0xf// 000000028A44: 0B0504FA FF00AAF8
	v_mul_f32_dpp v131, v248, v131 quad_perm:[3,3,3,3] row_mask:0xf bank_mask:0xf// 000000028A4C: 0B0706FA FF00FFF8
	v_mul_f32_dpp v132, v249, v132 quad_perm:[0,0,0,0] row_mask:0xf bank_mask:0xf// 000000028A54: 0B0908FA FF0000F9
	v_mul_f32_dpp v133, v249, v133 quad_perm:[1,1,1,1] row_mask:0xf bank_mask:0xf// 000000028A5C: 0B0B0AFA FF0055F9
	v_mul_f32_dpp v134, v249, v134 quad_perm:[2,2,2,2] row_mask:0xf bank_mask:0xf// 000000028A64: 0B0D0CFA FF00AAF9
	v_mul_f32_dpp v135, v249, v135 quad_perm:[3,3,3,3] row_mask:0xf bank_mask:0xf// 000000028A6C: 0B0F0EFA FF00FFF9
	v_mul_f32_dpp v136, v250, v136 quad_perm:[0,0,0,0] row_mask:0xf bank_mask:0xf// 000000028A74: 0B1110FA FF0000FA
	v_mul_f32_dpp v137, v250, v137 quad_perm:[1,1,1,1] row_mask:0xf bank_mask:0xf// 000000028A7C: 0B1312FA FF0055FA
	v_mul_f32_dpp v138, v250, v138 quad_perm:[2,2,2,2] row_mask:0xf bank_mask:0xf// 000000028A84: 0B1514FA FF00AAFA
	v_mul_f32_dpp v139, v250, v139 quad_perm:[3,3,3,3] row_mask:0xf bank_mask:0xf// 000000028A8C: 0B1716FA FF00FFFA
	v_mul_f32_dpp v140, v251, v140 quad_perm:[0,0,0,0] row_mask:0xf bank_mask:0xf// 000000028A94: 0B1918FA FF0000FB
	v_mul_f32_dpp v141, v251, v141 quad_perm:[1,1,1,1] row_mask:0xf bank_mask:0xf// 000000028A9C: 0B1B1AFA FF0055FB
	v_mul_f32_dpp v142, v251, v142 quad_perm:[2,2,2,2] row_mask:0xf bank_mask:0xf// 000000028AA4: 0B1D1CFA FF00AAFB
	v_mul_f32_dpp v143, v251, v143 quad_perm:[3,3,3,3] row_mask:0xf bank_mask:0xf// 000000028AAC: 0B1F1EFA FF00FFFB
	s_cmp_le_i32 s90, s89                                      // 000000028AB4: BF05595A
	s_cbranch_scc1 label_9AA0                                  // 000000028AB8: BF850071
	v_mov_b32_e32 v66, 0xff800000                              // 000000028ABC: 7E8402FF FF800000
	s_mov_b32 s60, s90                                         // 000000028AC4: BEBC005A
	s_add_u32 s61, s89, 0xff                                   // 000000028AC8: 803DFF59 000000FF
	v_mov_b32_e32 v64, s61                                     // 000000028AD0: 7E80023D
	v_lshrrev_b32_e32 v240, 4, v0                              // 000000028AD4: 21E00084
	v_mul_i32_i24_e32 v240, 4, v240                            // 000000028AD8: 0DE1E084
	v_add_u32_e32 v240, s60, v240                              // 000000028ADC: 69E1E03C
	s_mov_b32 s61, 1                                           // 000000028AE0: BEBD0081
	s_mul_i32 s60, 16, s7                                      // 000000028AE4: 923C0790
	v_sub_u32_e64 v240, v240, s61                              // 000000028AE8: D13500F0 00007BF0
	v_add_u32_e32 v240, s60, v240                              // 000000028AF0: 69E1E03C
	v_add_u32_e32 v241, 1, v240                                // 000000028AF4: 69E3E081
	v_add_u32_e32 v242, 2, v240                                // 000000028AF8: 69E5E082
	v_add_u32_e32 v243, 3, v240                                // 000000028AFC: 69E7E083
	v_cmp_le_u32_e64 s[40:41], v240, v64                       // 000000028B00: D0CB0028 000281F0
	v_add_u32_e32 v240, 64, v240                               // 000000028B08: 69E1E0C0
	s_nop 0                                                    // 000000028B0C: BF800000
	v_cndmask_b32_e64 v128, v66, v128, s[40:41]                // 000000028B10: D1000080 00A30142
	v_cmp_le_u32_e64 s[40:41], v241, v64                       // 000000028B18: D0CB0028 000281F1
	v_add_u32_e32 v241, 64, v241                               // 000000028B20: 69E3E2C0
	s_nop 0                                                    // 000000028B24: BF800000
	v_cndmask_b32_e64 v129, v66, v129, s[40:41]                // 000000028B28: D1000081 00A30342
	v_cmp_le_u32_e64 s[40:41], v242, v64                       // 000000028B30: D0CB0028 000281F2
	v_add_u32_e32 v242, 64, v242                               // 000000028B38: 69E5E4C0
	s_nop 0                                                    // 000000028B3C: BF800000
	v_cndmask_b32_e64 v130, v66, v130, s[40:41]                // 000000028B40: D1000082 00A30542
	v_cmp_le_u32_e64 s[40:41], v243, v64                       // 000000028B48: D0CB0028 000281F3
	v_add_u32_e32 v243, 64, v243                               // 000000028B50: 69E7E6C0
	s_nop 0                                                    // 000000028B54: BF800000
	v_cndmask_b32_e64 v131, v66, v131, s[40:41]                // 000000028B58: D1000083 00A30742
	v_cmp_le_u32_e64 s[40:41], v240, v64                       // 000000028B60: D0CB0028 000281F0
	v_add_u32_e32 v240, 64, v240                               // 000000028B68: 69E1E0C0
	s_nop 0                                                    // 000000028B6C: BF800000
	v_cndmask_b32_e64 v132, v66, v132, s[40:41]                // 000000028B70: D1000084 00A30942
	v_cmp_le_u32_e64 s[40:41], v241, v64                       // 000000028B78: D0CB0028 000281F1
	v_add_u32_e32 v241, 64, v241                               // 000000028B80: 69E3E2C0
	s_nop 0                                                    // 000000028B84: BF800000
	v_cndmask_b32_e64 v133, v66, v133, s[40:41]                // 000000028B88: D1000085 00A30B42
	v_cmp_le_u32_e64 s[40:41], v242, v64                       // 000000028B90: D0CB0028 000281F2
	v_add_u32_e32 v242, 64, v242                               // 000000028B98: 69E5E4C0
	s_nop 0                                                    // 000000028B9C: BF800000
	v_cndmask_b32_e64 v134, v66, v134, s[40:41]                // 000000028BA0: D1000086 00A30D42
	v_cmp_le_u32_e64 s[40:41], v243, v64                       // 000000028BA8: D0CB0028 000281F3
	v_add_u32_e32 v243, 64, v243                               // 000000028BB0: 69E7E6C0
	s_nop 0                                                    // 000000028BB4: BF800000
	v_cndmask_b32_e64 v135, v66, v135, s[40:41]                // 000000028BB8: D1000087 00A30F42
	v_cmp_le_u32_e64 s[40:41], v240, v64                       // 000000028BC0: D0CB0028 000281F0
	v_add_u32_e32 v240, 64, v240                               // 000000028BC8: 69E1E0C0
	s_nop 0                                                    // 000000028BCC: BF800000
	v_cndmask_b32_e64 v136, v66, v136, s[40:41]                // 000000028BD0: D1000088 00A31142
	v_cmp_le_u32_e64 s[40:41], v241, v64                       // 000000028BD8: D0CB0028 000281F1
	v_add_u32_e32 v241, 64, v241                               // 000000028BE0: 69E3E2C0
	s_nop 0                                                    // 000000028BE4: BF800000
	v_cndmask_b32_e64 v137, v66, v137, s[40:41]                // 000000028BE8: D1000089 00A31342
	v_cmp_le_u32_e64 s[40:41], v242, v64                       // 000000028BF0: D0CB0028 000281F2
	v_add_u32_e32 v242, 64, v242                               // 000000028BF8: 69E5E4C0
	s_nop 0                                                    // 000000028BFC: BF800000
	v_cndmask_b32_e64 v138, v66, v138, s[40:41]                // 000000028C00: D100008A 00A31542
	v_cmp_le_u32_e64 s[40:41], v243, v64                       // 000000028C08: D0CB0028 000281F3
	v_add_u32_e32 v243, 64, v243                               // 000000028C10: 69E7E6C0
	s_nop 0                                                    // 000000028C14: BF800000
	v_cndmask_b32_e64 v139, v66, v139, s[40:41]                // 000000028C18: D100008B 00A31742
	v_cmp_le_u32_e64 s[40:41], v240, v64                       // 000000028C20: D0CB0028 000281F0
	v_add_u32_e32 v240, 64, v240                               // 000000028C28: 69E1E0C0
	s_nop 0                                                    // 000000028C2C: BF800000
	v_cndmask_b32_e64 v140, v66, v140, s[40:41]                // 000000028C30: D100008C 00A31942
	v_cmp_le_u32_e64 s[40:41], v241, v64                       // 000000028C38: D0CB0028 000281F1
	v_add_u32_e32 v241, 64, v241                               // 000000028C40: 69E3E2C0
	s_nop 0                                                    // 000000028C44: BF800000
	v_cndmask_b32_e64 v141, v66, v141, s[40:41]                // 000000028C48: D100008D 00A31B42
	v_cmp_le_u32_e64 s[40:41], v242, v64                       // 000000028C50: D0CB0028 000281F2
	v_add_u32_e32 v242, 64, v242                               // 000000028C58: 69E5E4C0
	s_nop 0                                                    // 000000028C5C: BF800000
	v_cndmask_b32_e64 v142, v66, v142, s[40:41]                // 000000028C60: D100008E 00A31D42
	v_cmp_le_u32_e64 s[40:41], v243, v64                       // 000000028C68: D0CB0028 000281F3
	v_add_u32_e32 v243, 64, v243                               // 000000028C70: 69E7E6C0
	s_nop 0                                                    // 000000028C74: BF800000
	v_cndmask_b32_e64 v143, v66, v143, s[40:41]                // 000000028C78: D100008F 00A31F42

0000000000028c80 <label_9AA0>:
	s_and_b32 s60, s72, 0xff                                   // 000000028C80: 863CFF48 000000FF
	v_mov_b32_e32 v65, s60                                     // 000000028C88: 7E82023C
	v_lshrrev_b32_e32 v240, 4, v0                              // 000000028C8C: 21E00084
	v_mul_i32_i24_e32 v240, 4, v240                            // 000000028C90: 0DE1E084
	s_mul_i32 s60, s7, 16                                      // 000000028C94: 923C9007
	v_add_u32_e32 v240, s60, v240                              // 000000028C98: 69E1E03C
	v_add_u32_e32 v241, 1, v240                                // 000000028C9C: 69E3E081
	v_add_u32_e32 v242, 2, v240                                // 000000028CA0: 69E5E082
	v_add_u32_e32 v243, 3, v240                                // 000000028CA4: 69E7E083
	v_mov_b32_e32 v64, 0xff800000                              // 000000028CA8: 7E8002FF FF800000
	v_cmp_lt_u32_e64 s[40:41], v240, v65                       // 000000028CB0: D0C90028 000283F0
	v_add_u32_e32 v240, 64, v240                               // 000000028CB8: 69E1E0C0
	s_nop 0                                                    // 000000028CBC: BF800000
	v_cndmask_b32_e64 v128, v64, v128, s[40:41]                // 000000028CC0: D1000080 00A30140
	v_cmp_lt_u32_e64 s[40:41], v241, v65                       // 000000028CC8: D0C90028 000283F1
	v_add_u32_e32 v241, 64, v241                               // 000000028CD0: 69E3E2C0
	s_nop 0                                                    // 000000028CD4: BF800000
	v_cndmask_b32_e64 v129, v64, v129, s[40:41]                // 000000028CD8: D1000081 00A30340
	v_cmp_lt_u32_e64 s[40:41], v242, v65                       // 000000028CE0: D0C90028 000283F2
	v_add_u32_e32 v242, 64, v242                               // 000000028CE8: 69E5E4C0
	s_nop 0                                                    // 000000028CEC: BF800000
	v_cndmask_b32_e64 v130, v64, v130, s[40:41]                // 000000028CF0: D1000082 00A30540
	v_cmp_lt_u32_e64 s[40:41], v243, v65                       // 000000028CF8: D0C90028 000283F3
	v_add_u32_e32 v243, 64, v243                               // 000000028D00: 69E7E6C0
	s_nop 0                                                    // 000000028D04: BF800000
	v_cndmask_b32_e64 v131, v64, v131, s[40:41]                // 000000028D08: D1000083 00A30740
	v_cmp_lt_u32_e64 s[40:41], v240, v65                       // 000000028D10: D0C90028 000283F0
	v_add_u32_e32 v240, 64, v240                               // 000000028D18: 69E1E0C0
	s_nop 0                                                    // 000000028D1C: BF800000
	v_cndmask_b32_e64 v132, v64, v132, s[40:41]                // 000000028D20: D1000084 00A30940
	v_cmp_lt_u32_e64 s[40:41], v241, v65                       // 000000028D28: D0C90028 000283F1
	v_add_u32_e32 v241, 64, v241                               // 000000028D30: 69E3E2C0
	s_nop 0                                                    // 000000028D34: BF800000
	v_cndmask_b32_e64 v133, v64, v133, s[40:41]                // 000000028D38: D1000085 00A30B40
	v_cmp_lt_u32_e64 s[40:41], v242, v65                       // 000000028D40: D0C90028 000283F2
	v_add_u32_e32 v242, 64, v242                               // 000000028D48: 69E5E4C0
	s_nop 0                                                    // 000000028D4C: BF800000
	v_cndmask_b32_e64 v134, v64, v134, s[40:41]                // 000000028D50: D1000086 00A30D40
	v_cmp_lt_u32_e64 s[40:41], v243, v65                       // 000000028D58: D0C90028 000283F3
	v_add_u32_e32 v243, 64, v243                               // 000000028D60: 69E7E6C0
	s_nop 0                                                    // 000000028D64: BF800000
	v_cndmask_b32_e64 v135, v64, v135, s[40:41]                // 000000028D68: D1000087 00A30F40
	v_cmp_lt_u32_e64 s[40:41], v240, v65                       // 000000028D70: D0C90028 000283F0
	v_add_u32_e32 v240, 64, v240                               // 000000028D78: 69E1E0C0
	s_nop 0                                                    // 000000028D7C: BF800000
	v_cndmask_b32_e64 v136, v64, v136, s[40:41]                // 000000028D80: D1000088 00A31140
	v_cmp_lt_u32_e64 s[40:41], v241, v65                       // 000000028D88: D0C90028 000283F1
	v_add_u32_e32 v241, 64, v241                               // 000000028D90: 69E3E2C0
	s_nop 0                                                    // 000000028D94: BF800000
	v_cndmask_b32_e64 v137, v64, v137, s[40:41]                // 000000028D98: D1000089 00A31340
	v_cmp_lt_u32_e64 s[40:41], v242, v65                       // 000000028DA0: D0C90028 000283F2
	v_add_u32_e32 v242, 64, v242                               // 000000028DA8: 69E5E4C0
	s_nop 0                                                    // 000000028DAC: BF800000
	v_cndmask_b32_e64 v138, v64, v138, s[40:41]                // 000000028DB0: D100008A 00A31540
	v_cmp_lt_u32_e64 s[40:41], v243, v65                       // 000000028DB8: D0C90028 000283F3
	v_add_u32_e32 v243, 64, v243                               // 000000028DC0: 69E7E6C0
	s_nop 0                                                    // 000000028DC4: BF800000
	v_cndmask_b32_e64 v139, v64, v139, s[40:41]                // 000000028DC8: D100008B 00A31740
	v_cmp_lt_u32_e64 s[40:41], v240, v65                       // 000000028DD0: D0C90028 000283F0
	v_add_u32_e32 v240, 64, v240                               // 000000028DD8: 69E1E0C0
	s_nop 0                                                    // 000000028DDC: BF800000
	v_cndmask_b32_e64 v140, v64, v140, s[40:41]                // 000000028DE0: D100008C 00A31940
	v_cmp_lt_u32_e64 s[40:41], v241, v65                       // 000000028DE8: D0C90028 000283F1
	v_add_u32_e32 v241, 64, v241                               // 000000028DF0: 69E3E2C0
	s_nop 0                                                    // 000000028DF4: BF800000
	v_cndmask_b32_e64 v141, v64, v141, s[40:41]                // 000000028DF8: D100008D 00A31B40
	v_cmp_lt_u32_e64 s[40:41], v242, v65                       // 000000028E00: D0C90028 000283F2
	v_add_u32_e32 v242, 64, v242                               // 000000028E08: 69E5E4C0
	s_nop 0                                                    // 000000028E0C: BF800000
	v_cndmask_b32_e64 v142, v64, v142, s[40:41]                // 000000028E10: D100008E 00A31D40
	v_cmp_lt_u32_e64 s[40:41], v243, v65                       // 000000028E18: D0C90028 000283F3
	v_add_u32_e32 v243, 64, v243                               // 000000028E20: 69E7E6C0
	s_nop 0                                                    // 000000028E24: BF800000
	v_cndmask_b32_e64 v143, v64, v143, s[40:41]                // 000000028E28: D100008F 00A31F40
	v_mov_b32_e32 v48, v128                                    // 000000028E30: 7E600380
	v_max3_f32 v48, v128, v129, v48                            // 000000028E34: D1D30030 04C30380
	v_max3_f32 v48, v130, v131, v48                            // 000000028E3C: D1D30030 04C30782
	v_max3_f32 v48, v132, v133, v48                            // 000000028E44: D1D30030 04C30B84
	v_max3_f32 v48, v134, v135, v48                            // 000000028E4C: D1D30030 04C30F86
	v_max3_f32 v48, v136, v137, v48                            // 000000028E54: D1D30030 04C31388
	v_max3_f32 v48, v138, v139, v48                            // 000000028E5C: D1D30030 04C3178A
	v_max3_f32 v48, v140, v141, v48                            // 000000028E64: D1D30030 04C31B8C
	v_max3_f32 v48, v142, v143, v48                            // 000000028E6C: D1D30030 04C31F8E
	ds_write_b32 v8, v48 offset:16896                          // 000000028E74: D81A4200 00003008
	v_mul_f32_e32 v216, v50, v216                              // 000000028E7C: 0BB1B132
	v_mul_f32_e32 v217, v50, v217                              // 000000028E80: 0BB3B332
	v_mul_f32_e32 v218, v50, v218                              // 000000028E84: 0BB5B532
	v_mul_f32_e32 v219, v50, v219                              // 000000028E88: 0BB7B732
	v_mul_f32_e32 v220, v50, v220                              // 000000028E8C: 0BB9B932
	v_mul_f32_e32 v221, v50, v221                              // 000000028E90: 0BBBBB32
	v_mul_f32_e32 v222, v50, v222                              // 000000028E94: 0BBDBD32
	v_mul_f32_e32 v223, v50, v223                              // 000000028E98: 0BBFBF32
	s_waitcnt lgkmcnt(0)                                       // 000000028E9C: BF8CC07F
	s_barrier                                                  // 000000028EA0: BF8A0000
	ds_read_b32 v64, v7 offset:16896                           // 000000028EA4: D86C4200 40000007
	ds_read_b32 v65, v7 offset:16960                           // 000000028EAC: D86C4240 41000007
	ds_read_b32 v66, v7 offset:17024                           // 000000028EB4: D86C4280 42000007
	ds_read_b32 v67, v7 offset:17088                           // 000000028EBC: D86C42C0 43000007
	ds_read_b32 v68, v7 offset:17152                           // 000000028EC4: D86C4300 44000007
	ds_read_b32 v69, v7 offset:17216                           // 000000028ECC: D86C4340 45000007
	ds_read_b32 v70, v7 offset:17280                           // 000000028ED4: D86C4380 46000007
	ds_read_b32 v71, v7 offset:17344                           // 000000028EDC: D86C43C0 47000007
	ds_read_b32 v72, v7 offset:17408                           // 000000028EE4: D86C4400 48000007
	ds_read_b32 v73, v7 offset:17472                           // 000000028EEC: D86C4440 49000007
	ds_read_b32 v74, v7 offset:17536                           // 000000028EF4: D86C4480 4A000007
	ds_read_b32 v75, v7 offset:17600                           // 000000028EFC: D86C44C0 4B000007
	ds_read_b32 v76, v7 offset:17664                           // 000000028F04: D86C4500 4C000007
	ds_read_b32 v77, v7 offset:17728                           // 000000028F0C: D86C4540 4D000007
	ds_read_b32 v78, v7 offset:17792                           // 000000028F14: D86C4580 4E000007
	ds_read_b32 v79, v7 offset:17856                           // 000000028F1C: D86C45C0 4F000007
	v_mul_f32_e32 v184, v45, v184                              // 000000028F24: 0B71712D
	v_mul_f32_e32 v185, v45, v185                              // 000000028F28: 0B73732D
	v_mul_f32_e32 v186, v45, v186                              // 000000028F2C: 0B75752D
	v_mul_f32_e32 v187, v45, v187                              // 000000028F30: 0B77772D
	v_mul_f32_e32 v188, v45, v188                              // 000000028F34: 0B79792D
	v_mul_f32_e32 v189, v45, v189                              // 000000028F38: 0B7B7B2D
	v_mul_f32_e32 v190, v45, v190                              // 000000028F3C: 0B7D7D2D
	v_mul_f32_e32 v191, v45, v191                              // 000000028F40: 0B7F7F2D
	s_waitcnt lgkmcnt(0)                                       // 000000028F44: BF8CC07F
	v_max3_f32 v48, v64, v65, v48                              // 000000028F48: D1D30030 04C28340
	v_max3_f32 v48, v66, v67, v48                              // 000000028F50: D1D30030 04C28742
	v_max3_f32 v48, v68, v69, v48                              // 000000028F58: D1D30030 04C28B44
	v_max3_f32 v48, v70, v71, v48                              // 000000028F60: D1D30030 04C28F46
	v_max3_f32 v48, v72, v73, v48                              // 000000028F68: D1D30030 04C29348
	v_max3_f32 v48, v74, v75, v48                              // 000000028F70: D1D30030 04C2974A
	v_max3_f32 v48, v76, v77, v48                              // 000000028F78: D1D30030 04C29B4C
	v_max3_f32 v48, v78, v79, v48                              // 000000028F80: D1D30030 04C29F4E
	v_mov_b32_e32 v64, 0xff800000                              // 000000028F88: 7E8002FF FF800000
	v_cmp_eq_u32_e64 s[40:41], v64, v12                        // 000000028F90: D0CA0028 00021940
	s_nop 1                                                    // 000000028F98: BF800001
	v_max_f32_e32 v15, v48, v12                                // 000000028F9C: 161E1930
	v_mul_f32_e32 v53, s64, v15                                // 000000028FA0: 0A6A1E40
	v_fma_f32 v128, v128, s64, -v53                            // 000000028FA4: D1CB0080 84D48180
	v_fma_f32 v129, v129, s64, -v53                            // 000000028FAC: D1CB0081 84D48181
	v_fma_f32 v130, v130, s64, -v53                            // 000000028FB4: D1CB0082 84D48182
	v_fma_f32 v131, v131, s64, -v53                            // 000000028FBC: D1CB0083 84D48183
	v_fma_f32 v132, v132, s64, -v53                            // 000000028FC4: D1CB0084 84D48184
	v_fma_f32 v133, v133, s64, -v53                            // 000000028FCC: D1CB0085 84D48185
	v_fma_f32 v134, v134, s64, -v53                            // 000000028FD4: D1CB0086 84D48186
	v_fma_f32 v135, v135, s64, -v53                            // 000000028FDC: D1CB0087 84D48187
	v_fma_f32 v136, v136, s64, -v53                            // 000000028FE4: D1CB0088 84D48188
	v_fma_f32 v137, v137, s64, -v53                            // 000000028FEC: D1CB0089 84D48189
	v_fma_f32 v138, v138, s64, -v53                            // 000000028FF4: D1CB008A 84D4818A
	v_fma_f32 v139, v139, s64, -v53                            // 000000028FFC: D1CB008B 84D4818B
	v_fma_f32 v140, v140, s64, -v53                            // 000000029004: D1CB008C 84D4818C
	v_fma_f32 v141, v141, s64, -v53                            // 00000002900C: D1CB008D 84D4818D
	v_fma_f32 v142, v142, s64, -v53                            // 000000029014: D1CB008E 84D4818E
	v_fma_f32 v143, v143, s64, -v53                            // 00000002901C: D1CB008F 84D4818F
	v_exp_f32_e32 v128, v128                                   // 000000029024: 7F004180
	v_exp_f32_e32 v129, v129                                   // 000000029028: 7F024181
	v_exp_f32_e32 v130, v130                                   // 00000002902C: 7F044182
	v_exp_f32_e32 v131, v131                                   // 000000029030: 7F064183
	v_exp_f32_e32 v132, v132                                   // 000000029034: 7F084184
	v_exp_f32_e32 v133, v133                                   // 000000029038: 7F0A4185
	v_exp_f32_e32 v134, v134                                   // 00000002903C: 7F0C4186
	v_exp_f32_e32 v135, v135                                   // 000000029040: 7F0E4187
	v_exp_f32_e32 v136, v136                                   // 000000029044: 7F104188
	v_exp_f32_e32 v137, v137                                   // 000000029048: 7F124189
	v_exp_f32_e32 v138, v138                                   // 00000002904C: 7F14418A
	v_exp_f32_e32 v139, v139                                   // 000000029050: 7F16418B
	v_exp_f32_e32 v140, v140                                   // 000000029054: 7F18418C
	v_exp_f32_e32 v141, v141                                   // 000000029058: 7F1A418D
	v_exp_f32_e32 v142, v142                                   // 00000002905C: 7F1C418E
	v_exp_f32_e32 v143, v143                                   // 000000029060: 7F1E418F
	v_mul_f32_dpp v240, v252, v128 quad_perm:[0,0,0,0] row_mask:0xf bank_mask:0xf// 000000029064: 0BE100FA FF0000FC
	v_mul_f32_dpp v241, v252, v129 quad_perm:[1,1,1,1] row_mask:0xf bank_mask:0xf// 00000002906C: 0BE302FA FF0055FC
	v_mul_f32_dpp v242, v252, v130 quad_perm:[2,2,2,2] row_mask:0xf bank_mask:0xf// 000000029074: 0BE504FA FF00AAFC
	v_mul_f32_dpp v243, v252, v131 quad_perm:[3,3,3,3] row_mask:0xf bank_mask:0xf// 00000002907C: 0BE706FA FF00FFFC
	v_mul_f32_dpp v244, v253, v132 quad_perm:[0,0,0,0] row_mask:0xf bank_mask:0xf// 000000029084: 0BE908FA FF0000FD
	v_mul_f32_dpp v245, v253, v133 quad_perm:[1,1,1,1] row_mask:0xf bank_mask:0xf// 00000002908C: 0BEB0AFA FF0055FD
	v_mul_f32_dpp v246, v253, v134 quad_perm:[2,2,2,2] row_mask:0xf bank_mask:0xf// 000000029094: 0BED0CFA FF00AAFD
	v_mul_f32_dpp v247, v253, v135 quad_perm:[3,3,3,3] row_mask:0xf bank_mask:0xf// 00000002909C: 0BEF0EFA FF00FFFD
	v_mul_f32_dpp v248, v254, v136 quad_perm:[0,0,0,0] row_mask:0xf bank_mask:0xf// 0000000290A4: 0BF110FA FF0000FE
	v_mul_f32_dpp v249, v254, v137 quad_perm:[1,1,1,1] row_mask:0xf bank_mask:0xf// 0000000290AC: 0BF312FA FF0055FE
	v_mul_f32_dpp v250, v254, v138 quad_perm:[2,2,2,2] row_mask:0xf bank_mask:0xf// 0000000290B4: 0BF514FA FF00AAFE
	v_mul_f32_dpp v251, v254, v139 quad_perm:[3,3,3,3] row_mask:0xf bank_mask:0xf// 0000000290BC: 0BF716FA FF00FFFE
	v_mul_f32_dpp v252, v255, v140 quad_perm:[0,0,0,0] row_mask:0xf bank_mask:0xf// 0000000290C4: 0BF918FA FF0000FF
	v_mul_f32_dpp v253, v255, v141 quad_perm:[1,1,1,1] row_mask:0xf bank_mask:0xf// 0000000290CC: 0BFB1AFA FF0055FF
	v_mul_f32_dpp v254, v255, v142 quad_perm:[2,2,2,2] row_mask:0xf bank_mask:0xf// 0000000290D4: 0BFD1CFA FF00AAFF
	v_mul_f32_dpp v255, v255, v143 quad_perm:[3,3,3,3] row_mask:0xf bank_mask:0xf// 0000000290DC: 0BFF1EFA FF00FFFF
	v_mov_b32_e32 v48, 0x358637bd                              // 0000000290E4: 7E6002FF 358637BD
	v_max3_f32 v48, |v240|, |v241|, v48                        // 0000000290EC: D1D30330 04C3E3F0
	v_max3_f32 v48, |v242|, |v243|, v48                        // 0000000290F4: D1D30330 04C3E7F2
	v_max3_f32 v48, |v244|, |v245|, v48                        // 0000000290FC: D1D30330 04C3EBF4
	v_max3_f32 v48, |v246|, |v247|, v48                        // 000000029104: D1D30330 04C3EFF6
	v_max3_f32 v48, |v248|, |v249|, v48                        // 00000002910C: D1D30330 04C3F3F8
	v_max3_f32 v48, |v250|, |v251|, v48                        // 000000029114: D1D30330 04C3F7FA
	v_max3_f32 v48, |v252|, |v253|, v48                        // 00000002911C: D1D30330 04C3FBFC
	v_max3_f32 v48, |v254|, |v255|, v48                        // 000000029124: D1D30330 04C3FFFE
	ds_write_b32 v8, v48 offset:20992                          // 00000002912C: D81A5200 00003008
	v_sub_f32_e32 v50, v12, v15                                // 000000029134: 04641F0C
	v_cndmask_b32_e64 v50, v50, 0, s[40:41]                    // 000000029138: D1000032 00A10132
	v_mov_b32_e32 v12, v15                                     // 000000029140: 7E18030F
	v_mul_f32_e32 v50, s64, v50                                // 000000029144: 0A646440
	v_exp_f32_e32 v50, v50                                     // 000000029148: 7E644132
	s_waitcnt lgkmcnt(0)                                       // 00000002914C: BF8CC07F
	s_barrier                                                  // 000000029150: BF8A0000
	ds_read_b32 v64, v7 offset:20992                           // 000000029154: D86C5200 40000007
	ds_read_b32 v65, v7 offset:21056                           // 00000002915C: D86C5240 41000007
	ds_read_b32 v66, v7 offset:21120                           // 000000029164: D86C5280 42000007
	ds_read_b32 v67, v7 offset:21184                           // 00000002916C: D86C52C0 43000007
	ds_read_b32 v68, v7 offset:21248                           // 000000029174: D86C5300 44000007
	ds_read_b32 v69, v7 offset:21312                           // 00000002917C: D86C5340 45000007
	ds_read_b32 v70, v7 offset:21376                           // 000000029184: D86C5380 46000007
	ds_read_b32 v71, v7 offset:21440                           // 00000002918C: D86C53C0 47000007
	ds_read_b32 v72, v7 offset:21504                           // 000000029194: D86C5400 48000007
	ds_read_b32 v73, v7 offset:21568                           // 00000002919C: D86C5440 49000007
	ds_read_b32 v74, v7 offset:21632                           // 0000000291A4: D86C5480 4A000007
	ds_read_b32 v75, v7 offset:21696                           // 0000000291AC: D86C54C0 4B000007
	ds_read_b32 v76, v7 offset:21760                           // 0000000291B4: D86C5500 4C000007
	ds_read_b32 v77, v7 offset:21824                           // 0000000291BC: D86C5540 4D000007
	ds_read_b32 v78, v7 offset:21888                           // 0000000291C4: D86C5580 4E000007
	ds_read_b32 v79, v7 offset:21952                           // 0000000291CC: D86C55C0 4F000007
	v_mul_f32_e32 v39, v50, v39                                // 0000000291D4: 0A4E4F32
	v_mov_b32_e32 v15, v128                                    // 0000000291D8: 7E1E0380
	v_add_f32_e32 v15, v129, v15                               // 0000000291DC: 021E1F81
	v_add_f32_e32 v15, v130, v15                               // 0000000291E0: 021E1F82
	v_add_f32_e32 v15, v131, v15                               // 0000000291E4: 021E1F83
	v_add_f32_e32 v15, v132, v15                               // 0000000291E8: 021E1F84
	v_add_f32_e32 v15, v133, v15                               // 0000000291EC: 021E1F85
	v_add_f32_e32 v15, v134, v15                               // 0000000291F0: 021E1F86
	v_add_f32_e32 v15, v135, v15                               // 0000000291F4: 021E1F87
	v_add_f32_e32 v15, v136, v15                               // 0000000291F8: 021E1F88
	v_add_f32_e32 v15, v137, v15                               // 0000000291FC: 021E1F89
	v_add_f32_e32 v15, v138, v15                               // 000000029200: 021E1F8A
	v_add_f32_e32 v15, v139, v15                               // 000000029204: 021E1F8B
	v_add_f32_e32 v15, v140, v15                               // 000000029208: 021E1F8C
	v_add_f32_e32 v15, v141, v15                               // 00000002920C: 021E1F8D
	v_add_f32_e32 v15, v142, v15                               // 000000029210: 021E1F8E
	v_add_f32_e32 v15, v143, v15                               // 000000029214: 021E1F8F
	v_add_f32_e32 v39, v15, v39                                // 000000029218: 024E4F0F
	s_waitcnt lgkmcnt(0)                                       // 00000002921C: BF8CC07F
	v_max3_f32 v48, |v64|, |v65|, v48                          // 000000029220: D1D30330 04C28340
	v_max3_f32 v48, |v66|, |v67|, v48                          // 000000029228: D1D30330 04C28742
	v_max3_f32 v48, |v68|, |v69|, v48                          // 000000029230: D1D30330 04C28B44
	v_max3_f32 v48, |v70|, |v71|, v48                          // 000000029238: D1D30330 04C28F46
	v_max3_f32 v48, |v72|, |v73|, v48                          // 000000029240: D1D30330 04C29348
	v_max3_f32 v48, |v74|, |v75|, v48                          // 000000029248: D1D30330 04C2974A
	v_max3_f32 v48, |v76|, |v77|, v48                          // 000000029250: D1D30330 04C29B4C
	v_max3_f32 v48, |v78|, |v79|, v48                          // 000000029258: D1D30330 04C29F4E
	s_nop 2                                                    // 000000029260: BF800002
	v_rcp_f32_e32 v48, v48                                     // 000000029264: 7E604530
	s_nop 1                                                    // 000000029268: BF800001
	v_mul_f32_e32 v48, 0x43700000, v48                         // 00000002926C: 0A6060FF 43700000
	v_mul_f32_e32 v128, v48, v240                              // 000000029274: 0B01E130
	v_mul_f32_e32 v129, v48, v241                              // 000000029278: 0B03E330
	v_mul_f32_e32 v130, v48, v242                              // 00000002927C: 0B05E530
	v_mul_f32_e32 v131, v48, v243                              // 000000029280: 0B07E730
	v_mul_f32_e32 v132, v48, v244                              // 000000029284: 0B09E930
	v_mul_f32_e32 v133, v48, v245                              // 000000029288: 0B0BEB30
	v_mul_f32_e32 v134, v48, v246                              // 00000002928C: 0B0DED30
	v_mul_f32_e32 v135, v48, v247                              // 000000029290: 0B0FEF30
	v_mul_f32_e32 v136, v48, v248                              // 000000029294: 0B11F130
	v_mul_f32_e32 v137, v48, v249                              // 000000029298: 0B13F330
	v_mul_f32_e32 v138, v48, v250                              // 00000002929C: 0B15F530
	v_mul_f32_e32 v139, v48, v251                              // 0000000292A0: 0B17F730
	v_mul_f32_e32 v140, v48, v252                              // 0000000292A4: 0B19F930
	v_mul_f32_e32 v141, v48, v253                              // 0000000292A8: 0B1BFB30
	v_mul_f32_e32 v142, v48, v254                              // 0000000292AC: 0B1DFD30
	v_mul_f32_e32 v143, v48, v255                              // 0000000292B0: 0B1FFF30
	v_cvt_pk_fp8_f32 v128, v128, v129                          // 0000000292B4: D2A20080 00030380
	v_cvt_pk_fp8_f32 v128, v130, v131 op_sel:[0,0,1]           // 0000000292BC: D2A24080 00030782
	v_cvt_pk_fp8_f32 v129, v132, v133                          // 0000000292C4: D2A20081 00030B84
	v_cvt_pk_fp8_f32 v129, v134, v135 op_sel:[0,0,1]           // 0000000292CC: D2A24081 00030F86
	v_cvt_pk_fp8_f32 v130, v136, v137                          // 0000000292D4: D2A20082 00031388
	v_cvt_pk_fp8_f32 v130, v138, v139 op_sel:[0,0,1]           // 0000000292DC: D2A24082 0003178A
	v_cvt_pk_fp8_f32 v131, v140, v141                          // 0000000292E4: D2A20083 00031B8C
	v_cvt_pk_fp8_f32 v131, v142, v143 op_sel:[0,0,1]           // 0000000292EC: D2A24083 00031F8E
	ds_write_b32 v10, v128 offset:29184                        // 0000000292F4: D81A7200 0000800A
	ds_write_b32 v10, v129 offset:30208                        // 0000000292FC: D81A7600 0000810A
	ds_write_b32 v10, v130 offset:31232                        // 000000029304: D81A7A00 0000820A
	ds_write_b32 v10, v131 offset:32256                        // 00000002930C: D81A7E00 0000830A
	v_add_f32_e32 v216, v216, v184                             // 000000029314: 03B171D8
	v_add_f32_e32 v217, v217, v185                             // 000000029318: 03B373D9
	v_add_f32_e32 v218, v218, v186                             // 00000002931C: 03B575DA
	v_add_f32_e32 v219, v219, v187                             // 000000029320: 03B777DB
	v_add_f32_e32 v220, v220, v188                             // 000000029324: 03B979DC
	v_add_f32_e32 v221, v221, v189                             // 000000029328: 03BB7BDD
	v_add_f32_e32 v222, v222, v190                             // 00000002932C: 03BD7DDE
	v_add_f32_e32 v223, v223, v191                             // 000000029330: 03BF7FDF
	v_rcp_f32_e32 v45, v48                                     // 000000029334: 7E5A4530
	s_waitcnt lgkmcnt(0)                                       // 000000029338: BF8CC07F
	s_barrier                                                  // 00000002933C: BF8A0000
	ds_read_b64 v[128:129], v9 offset:29184                    // 000000029340: D8EC7200 80000009
	ds_read_b64 v[130:131], v9 offset:29312                    // 000000029348: D8EC7280 82000009
	ds_read_b64 v[132:133], v9 offset:30208                    // 000000029350: D8EC7600 84000009
	ds_read_b64 v[134:135], v9 offset:30336                    // 000000029358: D8EC7680 86000009
	ds_read_b64 v[136:137], v9 offset:31232                    // 000000029360: D8EC7A00 88000009
	ds_read_b64 v[138:139], v9 offset:31360                    // 000000029368: D8EC7A80 8A000009
	ds_read_b64 v[140:141], v9 offset:32256                    // 000000029370: D8EC7E00 8C000009
	ds_read_b64 v[142:143], v9 offset:32384                    // 000000029378: D8EC7E80 8E000009
	v_mov_b32_dpp v64, v42 row_shr:4 row_mask:0xf bank_mask:0xf// 000000029380: 7E8002FA FF01142A
	v_mov_b32_dpp v65, v42 row_shl:4 row_mask:0xf bank_mask:0xf// 000000029388: 7E8202FA FF01042A
	v_cndmask_b32_e64 v248, v42, v64, s[44:45]                 // 000000029390: D10000F8 00B2812A
	v_cndmask_b32_e64 v249, v65, v42, s[44:45]                 // 000000029398: D10000F9 00B25541
	v_mov_b32_dpp v64, v248 row_shr:8 row_mask:0xf bank_mask:0xf// 0000000293A0: 7E8002FA FF0118F8
	v_mov_b32_dpp v65, v248 row_shl:8 row_mask:0xf bank_mask:0xf// 0000000293A8: 7E8202FA FF0108F8
	v_mov_b32_dpp v66, v249 row_shr:8 row_mask:0xf bank_mask:0xf// 0000000293B0: 7E8402FA FF0118F9
	v_mov_b32_dpp v67, v249 row_shl:8 row_mask:0xf bank_mask:0xf// 0000000293B8: 7E8602FA FF0108F9
	v_mov_b32_e32 v68, v248                                    // 0000000293C0: 7E8803F8
	v_mov_b32_e32 v69, v249                                    // 0000000293C4: 7E8A03F9
	v_cndmask_b32_e64 v248, v68, v64, s[42:43]                 // 0000000293C8: D10000F8 00AA8144
	v_cndmask_b32_e64 v250, v68, v65, s[78:79]                 // 0000000293D0: D10000FA 013A8344
	v_cndmask_b32_e64 v249, v69, v66, s[42:43]                 // 0000000293D8: D10000F9 00AA8545
	v_cndmask_b32_e64 v251, v69, v67, s[78:79]                 // 0000000293E0: D10000FB 013A8745
	v_mov_b32_dpp v64, v57 row_shr:4 row_mask:0xf bank_mask:0xf// 0000000293E8: 7E8002FA FF011439
	v_mov_b32_dpp v65, v57 row_shl:4 row_mask:0xf bank_mask:0xf// 0000000293F0: 7E8202FA FF010439
	v_cndmask_b32_e64 v252, v57, v64, s[44:45]                 // 0000000293F8: D10000FC 00B28139
	v_cndmask_b32_e64 v253, v65, v57, s[44:45]                 // 000000029400: D10000FD 00B27341
	v_mov_b32_dpp v64, v252 row_shr:8 row_mask:0xf bank_mask:0xf// 000000029408: 7E8002FA FF0118FC
	v_mov_b32_dpp v65, v252 row_shl:8 row_mask:0xf bank_mask:0xf// 000000029410: 7E8202FA FF0108FC
	v_mov_b32_dpp v66, v253 row_shr:8 row_mask:0xf bank_mask:0xf// 000000029418: 7E8402FA FF0118FD
	v_mov_b32_dpp v67, v253 row_shl:8 row_mask:0xf bank_mask:0xf// 000000029420: 7E8602FA FF0108FD
	v_mov_b32_e32 v68, v252                                    // 000000029428: 7E8803FC
	v_mov_b32_e32 v69, v253                                    // 00000002942C: 7E8A03FD
	v_cndmask_b32_e64 v252, v68, v64, s[42:43]                 // 000000029430: D10000FC 00AA8144
	v_cndmask_b32_e64 v254, v68, v65, s[78:79]                 // 000000029438: D10000FE 013A8344
	v_cndmask_b32_e64 v253, v69, v66, s[42:43]                 // 000000029440: D10000FD 00AA8545
	v_cndmask_b32_e64 v255, v69, v67, s[78:79]                 // 000000029448: D10000FF 013A8745
	v_mul_f32_e32 v144, v20, v144                              // 000000029450: 0B212114
	v_mul_f32_e32 v145, v20, v145                              // 000000029454: 0B232314
	v_mul_f32_e32 v146, v20, v146                              // 000000029458: 0B252514
	v_mul_f32_e32 v147, v20, v147                              // 00000002945C: 0B272714
	v_mul_f32_e32 v148, v20, v148                              // 000000029460: 0B292914
	v_mul_f32_e32 v149, v20, v149                              // 000000029464: 0B2B2B14
	v_mul_f32_e32 v150, v20, v150                              // 000000029468: 0B2D2D14
	v_mul_f32_e32 v151, v20, v151                              // 00000002946C: 0B2F2F14
	v_mul_f32_e32 v152, v20, v152                              // 000000029470: 0B313114
	v_mul_f32_e32 v153, v20, v153                              // 000000029474: 0B333314
	v_mul_f32_e32 v154, v20, v154                              // 000000029478: 0B353514
	v_mul_f32_e32 v155, v20, v155                              // 00000002947C: 0B373714
	v_mul_f32_e32 v156, v20, v156                              // 000000029480: 0B393914
	v_mul_f32_e32 v157, v20, v157                              // 000000029484: 0B3B3B14
	v_mul_f32_e32 v158, v20, v158                              // 000000029488: 0B3D3D14
	v_mul_f32_e32 v159, v20, v159                              // 00000002948C: 0B3F3F14
	v_mul_f32_dpp v144, v248, v144 quad_perm:[0,0,0,0] row_mask:0xf bank_mask:0xf// 000000029490: 0B2120FA FF0000F8
	v_mul_f32_dpp v145, v248, v145 quad_perm:[1,1,1,1] row_mask:0xf bank_mask:0xf// 000000029498: 0B2322FA FF0055F8
	v_mul_f32_dpp v146, v248, v146 quad_perm:[2,2,2,2] row_mask:0xf bank_mask:0xf// 0000000294A0: 0B2524FA FF00AAF8
	v_mul_f32_dpp v147, v248, v147 quad_perm:[3,3,3,3] row_mask:0xf bank_mask:0xf// 0000000294A8: 0B2726FA FF00FFF8
	v_mul_f32_dpp v148, v249, v148 quad_perm:[0,0,0,0] row_mask:0xf bank_mask:0xf// 0000000294B0: 0B2928FA FF0000F9
	v_mul_f32_dpp v149, v249, v149 quad_perm:[1,1,1,1] row_mask:0xf bank_mask:0xf// 0000000294B8: 0B2B2AFA FF0055F9
	v_mul_f32_dpp v150, v249, v150 quad_perm:[2,2,2,2] row_mask:0xf bank_mask:0xf// 0000000294C0: 0B2D2CFA FF00AAF9
	v_mul_f32_dpp v151, v249, v151 quad_perm:[3,3,3,3] row_mask:0xf bank_mask:0xf// 0000000294C8: 0B2F2EFA FF00FFF9
	v_mul_f32_dpp v152, v250, v152 quad_perm:[0,0,0,0] row_mask:0xf bank_mask:0xf// 0000000294D0: 0B3130FA FF0000FA
	v_mul_f32_dpp v153, v250, v153 quad_perm:[1,1,1,1] row_mask:0xf bank_mask:0xf// 0000000294D8: 0B3332FA FF0055FA
	v_mul_f32_dpp v154, v250, v154 quad_perm:[2,2,2,2] row_mask:0xf bank_mask:0xf// 0000000294E0: 0B3534FA FF00AAFA
	v_mul_f32_dpp v155, v250, v155 quad_perm:[3,3,3,3] row_mask:0xf bank_mask:0xf// 0000000294E8: 0B3736FA FF00FFFA
	v_mul_f32_dpp v156, v251, v156 quad_perm:[0,0,0,0] row_mask:0xf bank_mask:0xf// 0000000294F0: 0B3938FA FF0000FB
	v_mul_f32_dpp v157, v251, v157 quad_perm:[1,1,1,1] row_mask:0xf bank_mask:0xf// 0000000294F8: 0B3B3AFA FF0055FB
	v_mul_f32_dpp v158, v251, v158 quad_perm:[2,2,2,2] row_mask:0xf bank_mask:0xf// 000000029500: 0B3D3CFA FF00AAFB
	v_mul_f32_dpp v159, v251, v159 quad_perm:[3,3,3,3] row_mask:0xf bank_mask:0xf// 000000029508: 0B3F3EFA FF00FFFB
	s_cmp_le_i32 s90, s89                                      // 000000029510: BF05595A
	s_cbranch_scc1 label_9D37                                  // 000000029514: BF850071
	v_mov_b32_e32 v66, 0xff800000                              // 000000029518: 7E8402FF FF800000
	s_mov_b32 s60, s90                                         // 000000029520: BEBC005A
	s_add_u32 s61, s89, 0xff                                   // 000000029524: 803DFF59 000000FF
	v_mov_b32_e32 v64, s61                                     // 00000002952C: 7E80023D
	v_lshrrev_b32_e32 v240, 4, v0                              // 000000029530: 21E00084
	v_mul_i32_i24_e32 v240, 4, v240                            // 000000029534: 0DE1E084
	v_add_u32_e32 v240, s60, v240                              // 000000029538: 69E1E03C
	s_mov_b32 s61, 2                                           // 00000002953C: BEBD0082
	s_mul_i32 s60, 16, s7                                      // 000000029540: 923C0790
	v_sub_u32_e64 v240, v240, s61                              // 000000029544: D13500F0 00007BF0
	v_add_u32_e32 v240, s60, v240                              // 00000002954C: 69E1E03C
	v_add_u32_e32 v241, 1, v240                                // 000000029550: 69E3E081
	v_add_u32_e32 v242, 2, v240                                // 000000029554: 69E5E082
	v_add_u32_e32 v243, 3, v240                                // 000000029558: 69E7E083
	v_cmp_le_u32_e64 s[40:41], v240, v64                       // 00000002955C: D0CB0028 000281F0
	v_add_u32_e32 v240, 64, v240                               // 000000029564: 69E1E0C0
	s_nop 0                                                    // 000000029568: BF800000
	v_cndmask_b32_e64 v144, v66, v144, s[40:41]                // 00000002956C: D1000090 00A32142
	v_cmp_le_u32_e64 s[40:41], v241, v64                       // 000000029574: D0CB0028 000281F1
	v_add_u32_e32 v241, 64, v241                               // 00000002957C: 69E3E2C0
	s_nop 0                                                    // 000000029580: BF800000
	v_cndmask_b32_e64 v145, v66, v145, s[40:41]                // 000000029584: D1000091 00A32342
	v_cmp_le_u32_e64 s[40:41], v242, v64                       // 00000002958C: D0CB0028 000281F2
	v_add_u32_e32 v242, 64, v242                               // 000000029594: 69E5E4C0
	s_nop 0                                                    // 000000029598: BF800000
	v_cndmask_b32_e64 v146, v66, v146, s[40:41]                // 00000002959C: D1000092 00A32542
	v_cmp_le_u32_e64 s[40:41], v243, v64                       // 0000000295A4: D0CB0028 000281F3
	v_add_u32_e32 v243, 64, v243                               // 0000000295AC: 69E7E6C0
	s_nop 0                                                    // 0000000295B0: BF800000
	v_cndmask_b32_e64 v147, v66, v147, s[40:41]                // 0000000295B4: D1000093 00A32742
	v_cmp_le_u32_e64 s[40:41], v240, v64                       // 0000000295BC: D0CB0028 000281F0
	v_add_u32_e32 v240, 64, v240                               // 0000000295C4: 69E1E0C0
	s_nop 0                                                    // 0000000295C8: BF800000
	v_cndmask_b32_e64 v148, v66, v148, s[40:41]                // 0000000295CC: D1000094 00A32942
	v_cmp_le_u32_e64 s[40:41], v241, v64                       // 0000000295D4: D0CB0028 000281F1
	v_add_u32_e32 v241, 64, v241                               // 0000000295DC: 69E3E2C0
	s_nop 0                                                    // 0000000295E0: BF800000
	v_cndmask_b32_e64 v149, v66, v149, s[40:41]                // 0000000295E4: D1000095 00A32B42
	v_cmp_le_u32_e64 s[40:41], v242, v64                       // 0000000295EC: D0CB0028 000281F2
	v_add_u32_e32 v242, 64, v242                               // 0000000295F4: 69E5E4C0
	s_nop 0                                                    // 0000000295F8: BF800000
	v_cndmask_b32_e64 v150, v66, v150, s[40:41]                // 0000000295FC: D1000096 00A32D42
	v_cmp_le_u32_e64 s[40:41], v243, v64                       // 000000029604: D0CB0028 000281F3
	v_add_u32_e32 v243, 64, v243                               // 00000002960C: 69E7E6C0
	s_nop 0                                                    // 000000029610: BF800000
	v_cndmask_b32_e64 v151, v66, v151, s[40:41]                // 000000029614: D1000097 00A32F42
	v_cmp_le_u32_e64 s[40:41], v240, v64                       // 00000002961C: D0CB0028 000281F0
	v_add_u32_e32 v240, 64, v240                               // 000000029624: 69E1E0C0
	s_nop 0                                                    // 000000029628: BF800000
	v_cndmask_b32_e64 v152, v66, v152, s[40:41]                // 00000002962C: D1000098 00A33142
	v_cmp_le_u32_e64 s[40:41], v241, v64                       // 000000029634: D0CB0028 000281F1
	v_add_u32_e32 v241, 64, v241                               // 00000002963C: 69E3E2C0
	s_nop 0                                                    // 000000029640: BF800000
	v_cndmask_b32_e64 v153, v66, v153, s[40:41]                // 000000029644: D1000099 00A33342
	v_cmp_le_u32_e64 s[40:41], v242, v64                       // 00000002964C: D0CB0028 000281F2
	v_add_u32_e32 v242, 64, v242                               // 000000029654: 69E5E4C0
	s_nop 0                                                    // 000000029658: BF800000
	v_cndmask_b32_e64 v154, v66, v154, s[40:41]                // 00000002965C: D100009A 00A33542
	v_cmp_le_u32_e64 s[40:41], v243, v64                       // 000000029664: D0CB0028 000281F3
	v_add_u32_e32 v243, 64, v243                               // 00000002966C: 69E7E6C0
	s_nop 0                                                    // 000000029670: BF800000
	v_cndmask_b32_e64 v155, v66, v155, s[40:41]                // 000000029674: D100009B 00A33742
	v_cmp_le_u32_e64 s[40:41], v240, v64                       // 00000002967C: D0CB0028 000281F0
	v_add_u32_e32 v240, 64, v240                               // 000000029684: 69E1E0C0
	s_nop 0                                                    // 000000029688: BF800000
	v_cndmask_b32_e64 v156, v66, v156, s[40:41]                // 00000002968C: D100009C 00A33942
	v_cmp_le_u32_e64 s[40:41], v241, v64                       // 000000029694: D0CB0028 000281F1
	v_add_u32_e32 v241, 64, v241                               // 00000002969C: 69E3E2C0
	s_nop 0                                                    // 0000000296A0: BF800000
	v_cndmask_b32_e64 v157, v66, v157, s[40:41]                // 0000000296A4: D100009D 00A33B42
	v_cmp_le_u32_e64 s[40:41], v242, v64                       // 0000000296AC: D0CB0028 000281F2
	v_add_u32_e32 v242, 64, v242                               // 0000000296B4: 69E5E4C0
	s_nop 0                                                    // 0000000296B8: BF800000
	v_cndmask_b32_e64 v158, v66, v158, s[40:41]                // 0000000296BC: D100009E 00A33D42
	v_cmp_le_u32_e64 s[40:41], v243, v64                       // 0000000296C4: D0CB0028 000281F3
	v_add_u32_e32 v243, 64, v243                               // 0000000296CC: 69E7E6C0
	s_nop 0                                                    // 0000000296D0: BF800000
	v_cndmask_b32_e64 v159, v66, v159, s[40:41]                // 0000000296D4: D100009F 00A33F42

00000000000296dc <label_9D37>:
	s_and_b32 s60, s72, 0xff                                   // 0000000296DC: 863CFF48 000000FF
	v_mov_b32_e32 v65, s60                                     // 0000000296E4: 7E82023C
	v_lshrrev_b32_e32 v240, 4, v0                              // 0000000296E8: 21E00084
	v_mul_i32_i24_e32 v240, 4, v240                            // 0000000296EC: 0DE1E084
	s_mul_i32 s60, s7, 16                                      // 0000000296F0: 923C9007
	v_add_u32_e32 v240, s60, v240                              // 0000000296F4: 69E1E03C
	v_add_u32_e32 v241, 1, v240                                // 0000000296F8: 69E3E081
	v_add_u32_e32 v242, 2, v240                                // 0000000296FC: 69E5E082
	v_add_u32_e32 v243, 3, v240                                // 000000029700: 69E7E083
	v_mov_b32_e32 v64, 0xff800000                              // 000000029704: 7E8002FF FF800000
	v_cmp_lt_u32_e64 s[40:41], v240, v65                       // 00000002970C: D0C90028 000283F0
	v_add_u32_e32 v240, 64, v240                               // 000000029714: 69E1E0C0
	s_nop 0                                                    // 000000029718: BF800000
	v_cndmask_b32_e64 v144, v64, v144, s[40:41]                // 00000002971C: D1000090 00A32140
	v_cmp_lt_u32_e64 s[40:41], v241, v65                       // 000000029724: D0C90028 000283F1
	v_add_u32_e32 v241, 64, v241                               // 00000002972C: 69E3E2C0
	s_nop 0                                                    // 000000029730: BF800000
	v_cndmask_b32_e64 v145, v64, v145, s[40:41]                // 000000029734: D1000091 00A32340
	v_cmp_lt_u32_e64 s[40:41], v242, v65                       // 00000002973C: D0C90028 000283F2
	v_add_u32_e32 v242, 64, v242                               // 000000029744: 69E5E4C0
	s_nop 0                                                    // 000000029748: BF800000
	v_cndmask_b32_e64 v146, v64, v146, s[40:41]                // 00000002974C: D1000092 00A32540
	v_cmp_lt_u32_e64 s[40:41], v243, v65                       // 000000029754: D0C90028 000283F3
	v_add_u32_e32 v243, 64, v243                               // 00000002975C: 69E7E6C0
	s_nop 0                                                    // 000000029760: BF800000
	v_cndmask_b32_e64 v147, v64, v147, s[40:41]                // 000000029764: D1000093 00A32740
	v_cmp_lt_u32_e64 s[40:41], v240, v65                       // 00000002976C: D0C90028 000283F0
	v_add_u32_e32 v240, 64, v240                               // 000000029774: 69E1E0C0
	s_nop 0                                                    // 000000029778: BF800000
	v_cndmask_b32_e64 v148, v64, v148, s[40:41]                // 00000002977C: D1000094 00A32940
	v_cmp_lt_u32_e64 s[40:41], v241, v65                       // 000000029784: D0C90028 000283F1
	v_add_u32_e32 v241, 64, v241                               // 00000002978C: 69E3E2C0
	s_nop 0                                                    // 000000029790: BF800000
	v_cndmask_b32_e64 v149, v64, v149, s[40:41]                // 000000029794: D1000095 00A32B40
	v_cmp_lt_u32_e64 s[40:41], v242, v65                       // 00000002979C: D0C90028 000283F2
	v_add_u32_e32 v242, 64, v242                               // 0000000297A4: 69E5E4C0
	s_nop 0                                                    // 0000000297A8: BF800000
	v_cndmask_b32_e64 v150, v64, v150, s[40:41]                // 0000000297AC: D1000096 00A32D40
	v_cmp_lt_u32_e64 s[40:41], v243, v65                       // 0000000297B4: D0C90028 000283F3
	v_add_u32_e32 v243, 64, v243                               // 0000000297BC: 69E7E6C0
	s_nop 0                                                    // 0000000297C0: BF800000
	v_cndmask_b32_e64 v151, v64, v151, s[40:41]                // 0000000297C4: D1000097 00A32F40
	v_cmp_lt_u32_e64 s[40:41], v240, v65                       // 0000000297CC: D0C90028 000283F0
	v_add_u32_e32 v240, 64, v240                               // 0000000297D4: 69E1E0C0
	s_nop 0                                                    // 0000000297D8: BF800000
	v_cndmask_b32_e64 v152, v64, v152, s[40:41]                // 0000000297DC: D1000098 00A33140
	v_cmp_lt_u32_e64 s[40:41], v241, v65                       // 0000000297E4: D0C90028 000283F1
	v_add_u32_e32 v241, 64, v241                               // 0000000297EC: 69E3E2C0
	s_nop 0                                                    // 0000000297F0: BF800000
	v_cndmask_b32_e64 v153, v64, v153, s[40:41]                // 0000000297F4: D1000099 00A33340
	v_cmp_lt_u32_e64 s[40:41], v242, v65                       // 0000000297FC: D0C90028 000283F2
	v_add_u32_e32 v242, 64, v242                               // 000000029804: 69E5E4C0
	s_nop 0                                                    // 000000029808: BF800000
	v_cndmask_b32_e64 v154, v64, v154, s[40:41]                // 00000002980C: D100009A 00A33540
	v_cmp_lt_u32_e64 s[40:41], v243, v65                       // 000000029814: D0C90028 000283F3
	v_add_u32_e32 v243, 64, v243                               // 00000002981C: 69E7E6C0
	s_nop 0                                                    // 000000029820: BF800000
	v_cndmask_b32_e64 v155, v64, v155, s[40:41]                // 000000029824: D100009B 00A33740
	v_cmp_lt_u32_e64 s[40:41], v240, v65                       // 00000002982C: D0C90028 000283F0
	v_add_u32_e32 v240, 64, v240                               // 000000029834: 69E1E0C0
	s_nop 0                                                    // 000000029838: BF800000
	v_cndmask_b32_e64 v156, v64, v156, s[40:41]                // 00000002983C: D100009C 00A33940
	v_cmp_lt_u32_e64 s[40:41], v241, v65                       // 000000029844: D0C90028 000283F1
	v_add_u32_e32 v241, 64, v241                               // 00000002984C: 69E3E2C0
	s_nop 0                                                    // 000000029850: BF800000
	v_cndmask_b32_e64 v157, v64, v157, s[40:41]                // 000000029854: D100009D 00A33B40
	v_cmp_lt_u32_e64 s[40:41], v242, v65                       // 00000002985C: D0C90028 000283F2
	v_add_u32_e32 v242, 64, v242                               // 000000029864: 69E5E4C0
	s_nop 0                                                    // 000000029868: BF800000
	v_cndmask_b32_e64 v158, v64, v158, s[40:41]                // 00000002986C: D100009E 00A33D40
	v_cmp_lt_u32_e64 s[40:41], v243, v65                       // 000000029874: D0C90028 000283F3
	v_add_u32_e32 v243, 64, v243                               // 00000002987C: 69E7E6C0
	s_nop 0                                                    // 000000029880: BF800000
	v_cndmask_b32_e64 v159, v64, v159, s[40:41]                // 000000029884: D100009F 00A33F40
	v_mov_b32_e32 v48, v144                                    // 00000002988C: 7E600390
	v_max3_f32 v48, v144, v145, v48                            // 000000029890: D1D30030 04C32390
	v_max3_f32 v48, v146, v147, v48                            // 000000029898: D1D30030 04C32792
	v_max3_f32 v48, v148, v149, v48                            // 0000000298A0: D1D30030 04C32B94
	v_max3_f32 v48, v150, v151, v48                            // 0000000298A8: D1D30030 04C32F96
	v_max3_f32 v48, v152, v153, v48                            // 0000000298B0: D1D30030 04C33398
	v_max3_f32 v48, v154, v155, v48                            // 0000000298B8: D1D30030 04C3379A
	v_max3_f32 v48, v156, v157, v48                            // 0000000298C0: D1D30030 04C33B9C
	v_max3_f32 v48, v158, v159, v48                            // 0000000298C8: D1D30030 04C33F9E
	ds_write_b32 v8, v48 offset:16896                          // 0000000298D0: D81A4200 00003008
	v_mul_f32_e32 v224, v51, v224                              // 0000000298D8: 0BC1C133
	v_mul_f32_e32 v225, v51, v225                              // 0000000298DC: 0BC3C333
	v_mul_f32_e32 v226, v51, v226                              // 0000000298E0: 0BC5C533
	v_mul_f32_e32 v227, v51, v227                              // 0000000298E4: 0BC7C733
	v_mul_f32_e32 v228, v51, v228                              // 0000000298E8: 0BC9C933
	v_mul_f32_e32 v229, v51, v229                              // 0000000298EC: 0BCBCB33
	v_mul_f32_e32 v230, v51, v230                              // 0000000298F0: 0BCDCD33
	v_mul_f32_e32 v231, v51, v231                              // 0000000298F4: 0BCFCF33
	s_waitcnt lgkmcnt(0)                                       // 0000000298F8: BF8CC07F
	s_barrier                                                  // 0000000298FC: BF8A0000
	ds_read_b32 v64, v7 offset:16896                           // 000000029900: D86C4200 40000007
	ds_read_b32 v65, v7 offset:16960                           // 000000029908: D86C4240 41000007
	ds_read_b32 v66, v7 offset:17024                           // 000000029910: D86C4280 42000007
	ds_read_b32 v67, v7 offset:17088                           // 000000029918: D86C42C0 43000007
	ds_read_b32 v68, v7 offset:17152                           // 000000029920: D86C4300 44000007
	ds_read_b32 v69, v7 offset:17216                           // 000000029928: D86C4340 45000007
	ds_read_b32 v70, v7 offset:17280                           // 000000029930: D86C4380 46000007
	ds_read_b32 v71, v7 offset:17344                           // 000000029938: D86C43C0 47000007
	ds_read_b32 v72, v7 offset:17408                           // 000000029940: D86C4400 48000007
	ds_read_b32 v73, v7 offset:17472                           // 000000029948: D86C4440 49000007
	ds_read_b32 v74, v7 offset:17536                           // 000000029950: D86C4480 4A000007
	ds_read_b32 v75, v7 offset:17600                           // 000000029958: D86C44C0 4B000007
	ds_read_b32 v76, v7 offset:17664                           // 000000029960: D86C4500 4C000007
	ds_read_b32 v77, v7 offset:17728                           // 000000029968: D86C4540 4D000007
	ds_read_b32 v78, v7 offset:17792                           // 000000029970: D86C4580 4E000007
	ds_read_b32 v79, v7 offset:17856                           // 000000029978: D86C45C0 4F000007
	v_mul_f32_e32 v192, v46, v192                              // 000000029980: 0B81812E
	v_mul_f32_e32 v193, v46, v193                              // 000000029984: 0B83832E
	v_mul_f32_e32 v194, v46, v194                              // 000000029988: 0B85852E
	v_mul_f32_e32 v195, v46, v195                              // 00000002998C: 0B87872E
	v_mul_f32_e32 v196, v46, v196                              // 000000029990: 0B89892E
	v_mul_f32_e32 v197, v46, v197                              // 000000029994: 0B8B8B2E
	v_mul_f32_e32 v198, v46, v198                              // 000000029998: 0B8D8D2E
	v_mul_f32_e32 v199, v46, v199                              // 00000002999C: 0B8F8F2E
	s_waitcnt lgkmcnt(0)                                       // 0000000299A0: BF8CC07F
	v_max3_f32 v48, v64, v65, v48                              // 0000000299A4: D1D30030 04C28340
	v_max3_f32 v48, v66, v67, v48                              // 0000000299AC: D1D30030 04C28742
	v_max3_f32 v48, v68, v69, v48                              // 0000000299B4: D1D30030 04C28B44
	v_max3_f32 v48, v70, v71, v48                              // 0000000299BC: D1D30030 04C28F46
	v_max3_f32 v48, v72, v73, v48                              // 0000000299C4: D1D30030 04C29348
	v_max3_f32 v48, v74, v75, v48                              // 0000000299CC: D1D30030 04C2974A
	v_max3_f32 v48, v76, v77, v48                              // 0000000299D4: D1D30030 04C29B4C
	v_max3_f32 v48, v78, v79, v48                              // 0000000299DC: D1D30030 04C29F4E
	v_mov_b32_e32 v64, 0xff800000                              // 0000000299E4: 7E8002FF FF800000
	v_cmp_eq_u32_e64 s[40:41], v64, v13                        // 0000000299EC: D0CA0028 00021B40
	s_nop 1                                                    // 0000000299F4: BF800001
	v_max_f32_e32 v15, v48, v13                                // 0000000299F8: 161E1B30
	v_mul_f32_e32 v53, s64, v15                                // 0000000299FC: 0A6A1E40
	v_fma_f32 v144, v144, s64, -v53                            // 000000029A00: D1CB0090 84D48190
	v_fma_f32 v145, v145, s64, -v53                            // 000000029A08: D1CB0091 84D48191
	v_fma_f32 v146, v146, s64, -v53                            // 000000029A10: D1CB0092 84D48192
	v_fma_f32 v147, v147, s64, -v53                            // 000000029A18: D1CB0093 84D48193
	v_fma_f32 v148, v148, s64, -v53                            // 000000029A20: D1CB0094 84D48194
	v_fma_f32 v149, v149, s64, -v53                            // 000000029A28: D1CB0095 84D48195
	v_fma_f32 v150, v150, s64, -v53                            // 000000029A30: D1CB0096 84D48196
	v_fma_f32 v151, v151, s64, -v53                            // 000000029A38: D1CB0097 84D48197
	v_fma_f32 v152, v152, s64, -v53                            // 000000029A40: D1CB0098 84D48198
	v_fma_f32 v153, v153, s64, -v53                            // 000000029A48: D1CB0099 84D48199
	v_fma_f32 v154, v154, s64, -v53                            // 000000029A50: D1CB009A 84D4819A
	v_fma_f32 v155, v155, s64, -v53                            // 000000029A58: D1CB009B 84D4819B
	v_fma_f32 v156, v156, s64, -v53                            // 000000029A60: D1CB009C 84D4819C
	v_fma_f32 v157, v157, s64, -v53                            // 000000029A68: D1CB009D 84D4819D
	v_fma_f32 v158, v158, s64, -v53                            // 000000029A70: D1CB009E 84D4819E
	v_fma_f32 v159, v159, s64, -v53                            // 000000029A78: D1CB009F 84D4819F
	v_exp_f32_e32 v144, v144                                   // 000000029A80: 7F204190
	v_exp_f32_e32 v145, v145                                   // 000000029A84: 7F224191
	v_exp_f32_e32 v146, v146                                   // 000000029A88: 7F244192
	v_exp_f32_e32 v147, v147                                   // 000000029A8C: 7F264193
	v_exp_f32_e32 v148, v148                                   // 000000029A90: 7F284194
	v_exp_f32_e32 v149, v149                                   // 000000029A94: 7F2A4195
	v_exp_f32_e32 v150, v150                                   // 000000029A98: 7F2C4196
	v_exp_f32_e32 v151, v151                                   // 000000029A9C: 7F2E4197
	v_exp_f32_e32 v152, v152                                   // 000000029AA0: 7F304198
	v_exp_f32_e32 v153, v153                                   // 000000029AA4: 7F324199
	v_exp_f32_e32 v154, v154                                   // 000000029AA8: 7F34419A
	v_exp_f32_e32 v155, v155                                   // 000000029AAC: 7F36419B
	v_exp_f32_e32 v156, v156                                   // 000000029AB0: 7F38419C
	v_exp_f32_e32 v157, v157                                   // 000000029AB4: 7F3A419D
	v_exp_f32_e32 v158, v158                                   // 000000029AB8: 7F3C419E
	v_exp_f32_e32 v159, v159                                   // 000000029ABC: 7F3E419F
	v_mul_f32_dpp v240, v252, v144 quad_perm:[0,0,0,0] row_mask:0xf bank_mask:0xf// 000000029AC0: 0BE120FA FF0000FC
	v_mul_f32_dpp v241, v252, v145 quad_perm:[1,1,1,1] row_mask:0xf bank_mask:0xf// 000000029AC8: 0BE322FA FF0055FC
	v_mul_f32_dpp v242, v252, v146 quad_perm:[2,2,2,2] row_mask:0xf bank_mask:0xf// 000000029AD0: 0BE524FA FF00AAFC
	v_mul_f32_dpp v243, v252, v147 quad_perm:[3,3,3,3] row_mask:0xf bank_mask:0xf// 000000029AD8: 0BE726FA FF00FFFC
	v_mul_f32_dpp v244, v253, v148 quad_perm:[0,0,0,0] row_mask:0xf bank_mask:0xf// 000000029AE0: 0BE928FA FF0000FD
	v_mul_f32_dpp v245, v253, v149 quad_perm:[1,1,1,1] row_mask:0xf bank_mask:0xf// 000000029AE8: 0BEB2AFA FF0055FD
	v_mul_f32_dpp v246, v253, v150 quad_perm:[2,2,2,2] row_mask:0xf bank_mask:0xf// 000000029AF0: 0BED2CFA FF00AAFD
	v_mul_f32_dpp v247, v253, v151 quad_perm:[3,3,3,3] row_mask:0xf bank_mask:0xf// 000000029AF8: 0BEF2EFA FF00FFFD
	v_mul_f32_dpp v248, v254, v152 quad_perm:[0,0,0,0] row_mask:0xf bank_mask:0xf// 000000029B00: 0BF130FA FF0000FE
	v_mul_f32_dpp v249, v254, v153 quad_perm:[1,1,1,1] row_mask:0xf bank_mask:0xf// 000000029B08: 0BF332FA FF0055FE
	v_mul_f32_dpp v250, v254, v154 quad_perm:[2,2,2,2] row_mask:0xf bank_mask:0xf// 000000029B10: 0BF534FA FF00AAFE
	v_mul_f32_dpp v251, v254, v155 quad_perm:[3,3,3,3] row_mask:0xf bank_mask:0xf// 000000029B18: 0BF736FA FF00FFFE
	v_mul_f32_dpp v252, v255, v156 quad_perm:[0,0,0,0] row_mask:0xf bank_mask:0xf// 000000029B20: 0BF938FA FF0000FF
	v_mul_f32_dpp v253, v255, v157 quad_perm:[1,1,1,1] row_mask:0xf bank_mask:0xf// 000000029B28: 0BFB3AFA FF0055FF
	v_mul_f32_dpp v254, v255, v158 quad_perm:[2,2,2,2] row_mask:0xf bank_mask:0xf// 000000029B30: 0BFD3CFA FF00AAFF
	v_mul_f32_dpp v255, v255, v159 quad_perm:[3,3,3,3] row_mask:0xf bank_mask:0xf// 000000029B38: 0BFF3EFA FF00FFFF
	v_mov_b32_e32 v48, 0x358637bd                              // 000000029B40: 7E6002FF 358637BD
	v_max3_f32 v48, |v240|, |v241|, v48                        // 000000029B48: D1D30330 04C3E3F0
	v_max3_f32 v48, |v242|, |v243|, v48                        // 000000029B50: D1D30330 04C3E7F2
	v_max3_f32 v48, |v244|, |v245|, v48                        // 000000029B58: D1D30330 04C3EBF4
	v_max3_f32 v48, |v246|, |v247|, v48                        // 000000029B60: D1D30330 04C3EFF6
	v_max3_f32 v48, |v248|, |v249|, v48                        // 000000029B68: D1D30330 04C3F3F8
	v_max3_f32 v48, |v250|, |v251|, v48                        // 000000029B70: D1D30330 04C3F7FA
	v_max3_f32 v48, |v252|, |v253|, v48                        // 000000029B78: D1D30330 04C3FBFC
	v_max3_f32 v48, |v254|, |v255|, v48                        // 000000029B80: D1D30330 04C3FFFE
	ds_write_b32 v8, v48 offset:20992                          // 000000029B88: D81A5200 00003008
	v_sub_f32_e32 v51, v13, v15                                // 000000029B90: 04661F0D
	v_cndmask_b32_e64 v51, v51, 0, s[40:41]                    // 000000029B94: D1000033 00A10133
	v_mov_b32_e32 v13, v15                                     // 000000029B9C: 7E1A030F
	v_mul_f32_e32 v51, s64, v51                                // 000000029BA0: 0A666640
	v_exp_f32_e32 v51, v51                                     // 000000029BA4: 7E664133
	s_waitcnt lgkmcnt(0)                                       // 000000029BA8: BF8CC07F
	s_barrier                                                  // 000000029BAC: BF8A0000
	ds_read_b32 v64, v7 offset:20992                           // 000000029BB0: D86C5200 40000007
	ds_read_b32 v65, v7 offset:21056                           // 000000029BB8: D86C5240 41000007
	ds_read_b32 v66, v7 offset:21120                           // 000000029BC0: D86C5280 42000007
	ds_read_b32 v67, v7 offset:21184                           // 000000029BC8: D86C52C0 43000007
	ds_read_b32 v68, v7 offset:21248                           // 000000029BD0: D86C5300 44000007
	ds_read_b32 v69, v7 offset:21312                           // 000000029BD8: D86C5340 45000007
	ds_read_b32 v70, v7 offset:21376                           // 000000029BE0: D86C5380 46000007
	ds_read_b32 v71, v7 offset:21440                           // 000000029BE8: D86C53C0 47000007
	ds_read_b32 v72, v7 offset:21504                           // 000000029BF0: D86C5400 48000007
	ds_read_b32 v73, v7 offset:21568                           // 000000029BF8: D86C5440 49000007
	ds_read_b32 v74, v7 offset:21632                           // 000000029C00: D86C5480 4A000007
	ds_read_b32 v75, v7 offset:21696                           // 000000029C08: D86C54C0 4B000007
	ds_read_b32 v76, v7 offset:21760                           // 000000029C10: D86C5500 4C000007
	ds_read_b32 v77, v7 offset:21824                           // 000000029C18: D86C5540 4D000007
	ds_read_b32 v78, v7 offset:21888                           // 000000029C20: D86C5580 4E000007
	ds_read_b32 v79, v7 offset:21952                           // 000000029C28: D86C55C0 4F000007
	v_mul_f32_e32 v40, v51, v40                                // 000000029C30: 0A505133
	v_mov_b32_e32 v15, v144                                    // 000000029C34: 7E1E0390
	v_add_f32_e32 v15, v145, v15                               // 000000029C38: 021E1F91
	v_add_f32_e32 v15, v146, v15                               // 000000029C3C: 021E1F92
	v_add_f32_e32 v15, v147, v15                               // 000000029C40: 021E1F93
	v_add_f32_e32 v15, v148, v15                               // 000000029C44: 021E1F94
	v_add_f32_e32 v15, v149, v15                               // 000000029C48: 021E1F95
	v_add_f32_e32 v15, v150, v15                               // 000000029C4C: 021E1F96
	v_add_f32_e32 v15, v151, v15                               // 000000029C50: 021E1F97
	v_add_f32_e32 v15, v152, v15                               // 000000029C54: 021E1F98
	v_add_f32_e32 v15, v153, v15                               // 000000029C58: 021E1F99
	v_add_f32_e32 v15, v154, v15                               // 000000029C5C: 021E1F9A
	v_add_f32_e32 v15, v155, v15                               // 000000029C60: 021E1F9B
	v_add_f32_e32 v15, v156, v15                               // 000000029C64: 021E1F9C
	v_add_f32_e32 v15, v157, v15                               // 000000029C68: 021E1F9D
	v_add_f32_e32 v15, v158, v15                               // 000000029C6C: 021E1F9E
	v_add_f32_e32 v15, v159, v15                               // 000000029C70: 021E1F9F
	v_add_f32_e32 v40, v15, v40                                // 000000029C74: 0250510F
	s_waitcnt lgkmcnt(0)                                       // 000000029C78: BF8CC07F
	v_max3_f32 v48, |v64|, |v65|, v48                          // 000000029C7C: D1D30330 04C28340
	v_max3_f32 v48, |v66|, |v67|, v48                          // 000000029C84: D1D30330 04C28742
	v_max3_f32 v48, |v68|, |v69|, v48                          // 000000029C8C: D1D30330 04C28B44
	v_max3_f32 v48, |v70|, |v71|, v48                          // 000000029C94: D1D30330 04C28F46
	v_max3_f32 v48, |v72|, |v73|, v48                          // 000000029C9C: D1D30330 04C29348
	v_max3_f32 v48, |v74|, |v75|, v48                          // 000000029CA4: D1D30330 04C2974A
	v_max3_f32 v48, |v76|, |v77|, v48                          // 000000029CAC: D1D30330 04C29B4C
	v_max3_f32 v48, |v78|, |v79|, v48                          // 000000029CB4: D1D30330 04C29F4E
	s_nop 2                                                    // 000000029CBC: BF800002
	v_rcp_f32_e32 v48, v48                                     // 000000029CC0: 7E604530
	s_nop 1                                                    // 000000029CC4: BF800001
	v_mul_f32_e32 v48, 0x43700000, v48                         // 000000029CC8: 0A6060FF 43700000
	v_mul_f32_e32 v144, v48, v240                              // 000000029CD0: 0B21E130
	v_mul_f32_e32 v145, v48, v241                              // 000000029CD4: 0B23E330
	v_mul_f32_e32 v146, v48, v242                              // 000000029CD8: 0B25E530
	v_mul_f32_e32 v147, v48, v243                              // 000000029CDC: 0B27E730
	v_mul_f32_e32 v148, v48, v244                              // 000000029CE0: 0B29E930
	v_mul_f32_e32 v149, v48, v245                              // 000000029CE4: 0B2BEB30
	v_mul_f32_e32 v150, v48, v246                              // 000000029CE8: 0B2DED30
	v_mul_f32_e32 v151, v48, v247                              // 000000029CEC: 0B2FEF30
	v_mul_f32_e32 v152, v48, v248                              // 000000029CF0: 0B31F130
	v_mul_f32_e32 v153, v48, v249                              // 000000029CF4: 0B33F330
	v_mul_f32_e32 v154, v48, v250                              // 000000029CF8: 0B35F530
	v_mul_f32_e32 v155, v48, v251                              // 000000029CFC: 0B37F730
	v_mul_f32_e32 v156, v48, v252                              // 000000029D00: 0B39F930
	v_mul_f32_e32 v157, v48, v253                              // 000000029D04: 0B3BFB30
	v_mul_f32_e32 v158, v48, v254                              // 000000029D08: 0B3DFD30
	v_mul_f32_e32 v159, v48, v255                              // 000000029D0C: 0B3FFF30
	v_cvt_pk_fp8_f32 v144, v144, v145                          // 000000029D10: D2A20090 00032390
	v_cvt_pk_fp8_f32 v144, v146, v147 op_sel:[0,0,1]           // 000000029D18: D2A24090 00032792
	v_cvt_pk_fp8_f32 v145, v148, v149                          // 000000029D20: D2A20091 00032B94
	v_cvt_pk_fp8_f32 v145, v150, v151 op_sel:[0,0,1]           // 000000029D28: D2A24091 00032F96
	v_cvt_pk_fp8_f32 v146, v152, v153                          // 000000029D30: D2A20092 00033398
	v_cvt_pk_fp8_f32 v146, v154, v155 op_sel:[0,0,1]           // 000000029D38: D2A24092 0003379A
	v_cvt_pk_fp8_f32 v147, v156, v157                          // 000000029D40: D2A20093 00033B9C
	v_cvt_pk_fp8_f32 v147, v158, v159 op_sel:[0,0,1]           // 000000029D48: D2A24093 00033F9E
	ds_write_b32 v10, v144 offset:33280                        // 000000029D50: D81A8200 0000900A
	ds_write_b32 v10, v145 offset:34304                        // 000000029D58: D81A8600 0000910A
	ds_write_b32 v10, v146 offset:35328                        // 000000029D60: D81A8A00 0000920A
	ds_write_b32 v10, v147 offset:36352                        // 000000029D68: D81A8E00 0000930A
	v_add_f32_e32 v224, v224, v192                             // 000000029D70: 03C181E0
	v_add_f32_e32 v225, v225, v193                             // 000000029D74: 03C383E1
	v_add_f32_e32 v226, v226, v194                             // 000000029D78: 03C585E2
	v_add_f32_e32 v227, v227, v195                             // 000000029D7C: 03C787E3
	v_add_f32_e32 v228, v228, v196                             // 000000029D80: 03C989E4
	v_add_f32_e32 v229, v229, v197                             // 000000029D84: 03CB8BE5
	v_add_f32_e32 v230, v230, v198                             // 000000029D88: 03CD8DE6
	v_add_f32_e32 v231, v231, v199                             // 000000029D8C: 03CF8FE7
	v_rcp_f32_e32 v46, v48                                     // 000000029D90: 7E5C4530
	s_waitcnt lgkmcnt(0)                                       // 000000029D94: BF8CC07F
	s_barrier                                                  // 000000029D98: BF8A0000
	ds_read_b64 v[144:145], v9 offset:33280                    // 000000029D9C: D8EC8200 90000009
	ds_read_b64 v[146:147], v9 offset:33408                    // 000000029DA4: D8EC8280 92000009
	ds_read_b64 v[148:149], v9 offset:34304                    // 000000029DAC: D8EC8600 94000009
	ds_read_b64 v[150:151], v9 offset:34432                    // 000000029DB4: D8EC8680 96000009
	ds_read_b64 v[152:153], v9 offset:35328                    // 000000029DBC: D8EC8A00 98000009
	ds_read_b64 v[154:155], v9 offset:35456                    // 000000029DC4: D8EC8A80 9A000009
	ds_read_b64 v[156:157], v9 offset:36352                    // 000000029DCC: D8EC8E00 9C000009
	ds_read_b64 v[158:159], v9 offset:36480                    // 000000029DD4: D8EC8E80 9E000009
	v_mov_b32_dpp v64, v42 row_shr:4 row_mask:0xf bank_mask:0xf// 000000029DDC: 7E8002FA FF01142A
	v_mov_b32_dpp v65, v42 row_shl:4 row_mask:0xf bank_mask:0xf// 000000029DE4: 7E8202FA FF01042A
	v_cndmask_b32_e64 v248, v42, v64, s[44:45]                 // 000000029DEC: D10000F8 00B2812A
	v_cndmask_b32_e64 v249, v65, v42, s[44:45]                 // 000000029DF4: D10000F9 00B25541
	v_mov_b32_dpp v64, v248 row_shr:8 row_mask:0xf bank_mask:0xf// 000000029DFC: 7E8002FA FF0118F8
	v_mov_b32_dpp v65, v248 row_shl:8 row_mask:0xf bank_mask:0xf// 000000029E04: 7E8202FA FF0108F8
	v_mov_b32_dpp v66, v249 row_shr:8 row_mask:0xf bank_mask:0xf// 000000029E0C: 7E8402FA FF0118F9
	v_mov_b32_dpp v67, v249 row_shl:8 row_mask:0xf bank_mask:0xf// 000000029E14: 7E8602FA FF0108F9
	v_mov_b32_e32 v68, v248                                    // 000000029E1C: 7E8803F8
	v_mov_b32_e32 v69, v249                                    // 000000029E20: 7E8A03F9
	v_cndmask_b32_e64 v248, v68, v64, s[42:43]                 // 000000029E24: D10000F8 00AA8144
	v_cndmask_b32_e64 v250, v68, v65, s[78:79]                 // 000000029E2C: D10000FA 013A8344
	v_cndmask_b32_e64 v249, v69, v66, s[42:43]                 // 000000029E34: D10000F9 00AA8545
	v_cndmask_b32_e64 v251, v69, v67, s[78:79]                 // 000000029E3C: D10000FB 013A8745
	v_mov_b32_dpp v64, v57 row_shr:4 row_mask:0xf bank_mask:0xf// 000000029E44: 7E8002FA FF011439
	v_mov_b32_dpp v65, v57 row_shl:4 row_mask:0xf bank_mask:0xf// 000000029E4C: 7E8202FA FF010439
	v_cndmask_b32_e64 v252, v57, v64, s[44:45]                 // 000000029E54: D10000FC 00B28139
	v_cndmask_b32_e64 v253, v65, v57, s[44:45]                 // 000000029E5C: D10000FD 00B27341
	v_mov_b32_dpp v64, v252 row_shr:8 row_mask:0xf bank_mask:0xf// 000000029E64: 7E8002FA FF0118FC
	v_mov_b32_dpp v65, v252 row_shl:8 row_mask:0xf bank_mask:0xf// 000000029E6C: 7E8202FA FF0108FC
	v_mov_b32_dpp v66, v253 row_shr:8 row_mask:0xf bank_mask:0xf// 000000029E74: 7E8402FA FF0118FD
	v_mov_b32_dpp v67, v253 row_shl:8 row_mask:0xf bank_mask:0xf// 000000029E7C: 7E8602FA FF0108FD
	v_mov_b32_e32 v68, v252                                    // 000000029E84: 7E8803FC
	v_mov_b32_e32 v69, v253                                    // 000000029E88: 7E8A03FD
	v_cndmask_b32_e64 v252, v68, v64, s[42:43]                 // 000000029E8C: D10000FC 00AA8144
	v_cndmask_b32_e64 v254, v68, v65, s[78:79]                 // 000000029E94: D10000FE 013A8344
	v_cndmask_b32_e64 v253, v69, v66, s[42:43]                 // 000000029E9C: D10000FD 00AA8545
	v_cndmask_b32_e64 v255, v69, v67, s[78:79]                 // 000000029EA4: D10000FF 013A8745
	v_mul_f32_e32 v160, v21, v160                              // 000000029EAC: 0B414115
	v_mul_f32_e32 v161, v21, v161                              // 000000029EB0: 0B434315
	v_mul_f32_e32 v162, v21, v162                              // 000000029EB4: 0B454515
	v_mul_f32_e32 v163, v21, v163                              // 000000029EB8: 0B474715
	v_mul_f32_e32 v164, v21, v164                              // 000000029EBC: 0B494915
	v_mul_f32_e32 v165, v21, v165                              // 000000029EC0: 0B4B4B15
	v_mul_f32_e32 v166, v21, v166                              // 000000029EC4: 0B4D4D15
	v_mul_f32_e32 v167, v21, v167                              // 000000029EC8: 0B4F4F15
	v_mul_f32_e32 v168, v21, v168                              // 000000029ECC: 0B515115
	v_mul_f32_e32 v169, v21, v169                              // 000000029ED0: 0B535315
	v_mul_f32_e32 v170, v21, v170                              // 000000029ED4: 0B555515
	v_mul_f32_e32 v171, v21, v171                              // 000000029ED8: 0B575715
	v_mul_f32_e32 v172, v21, v172                              // 000000029EDC: 0B595915
	v_mul_f32_e32 v173, v21, v173                              // 000000029EE0: 0B5B5B15
	v_mul_f32_e32 v174, v21, v174                              // 000000029EE4: 0B5D5D15
	v_mul_f32_e32 v175, v21, v175                              // 000000029EE8: 0B5F5F15
	v_mul_f32_dpp v160, v248, v160 quad_perm:[0,0,0,0] row_mask:0xf bank_mask:0xf// 000000029EEC: 0B4140FA FF0000F8
	v_mul_f32_dpp v161, v248, v161 quad_perm:[1,1,1,1] row_mask:0xf bank_mask:0xf// 000000029EF4: 0B4342FA FF0055F8
	v_mul_f32_dpp v162, v248, v162 quad_perm:[2,2,2,2] row_mask:0xf bank_mask:0xf// 000000029EFC: 0B4544FA FF00AAF8
	v_mul_f32_dpp v163, v248, v163 quad_perm:[3,3,3,3] row_mask:0xf bank_mask:0xf// 000000029F04: 0B4746FA FF00FFF8
	v_mul_f32_dpp v164, v249, v164 quad_perm:[0,0,0,0] row_mask:0xf bank_mask:0xf// 000000029F0C: 0B4948FA FF0000F9
	v_mul_f32_dpp v165, v249, v165 quad_perm:[1,1,1,1] row_mask:0xf bank_mask:0xf// 000000029F14: 0B4B4AFA FF0055F9
	v_mul_f32_dpp v166, v249, v166 quad_perm:[2,2,2,2] row_mask:0xf bank_mask:0xf// 000000029F1C: 0B4D4CFA FF00AAF9
	v_mul_f32_dpp v167, v249, v167 quad_perm:[3,3,3,3] row_mask:0xf bank_mask:0xf// 000000029F24: 0B4F4EFA FF00FFF9
	v_mul_f32_dpp v168, v250, v168 quad_perm:[0,0,0,0] row_mask:0xf bank_mask:0xf// 000000029F2C: 0B5150FA FF0000FA
	v_mul_f32_dpp v169, v250, v169 quad_perm:[1,1,1,1] row_mask:0xf bank_mask:0xf// 000000029F34: 0B5352FA FF0055FA
	v_mul_f32_dpp v170, v250, v170 quad_perm:[2,2,2,2] row_mask:0xf bank_mask:0xf// 000000029F3C: 0B5554FA FF00AAFA
	v_mul_f32_dpp v171, v250, v171 quad_perm:[3,3,3,3] row_mask:0xf bank_mask:0xf// 000000029F44: 0B5756FA FF00FFFA
	v_mul_f32_dpp v172, v251, v172 quad_perm:[0,0,0,0] row_mask:0xf bank_mask:0xf// 000000029F4C: 0B5958FA FF0000FB
	v_mul_f32_dpp v173, v251, v173 quad_perm:[1,1,1,1] row_mask:0xf bank_mask:0xf// 000000029F54: 0B5B5AFA FF0055FB
	v_mul_f32_dpp v174, v251, v174 quad_perm:[2,2,2,2] row_mask:0xf bank_mask:0xf// 000000029F5C: 0B5D5CFA FF00AAFB
	v_mul_f32_dpp v175, v251, v175 quad_perm:[3,3,3,3] row_mask:0xf bank_mask:0xf// 000000029F64: 0B5F5EFA FF00FFFB
	s_cmp_le_i32 s90, s89                                      // 000000029F6C: BF05595A
	s_cbranch_scc1 label_9FCE                                  // 000000029F70: BF850071
	v_mov_b32_e32 v66, 0xff800000                              // 000000029F74: 7E8402FF FF800000
	s_mov_b32 s60, s90                                         // 000000029F7C: BEBC005A
	s_add_u32 s61, s89, 0xff                                   // 000000029F80: 803DFF59 000000FF
	v_mov_b32_e32 v64, s61                                     // 000000029F88: 7E80023D
	v_lshrrev_b32_e32 v240, 4, v0                              // 000000029F8C: 21E00084
	v_mul_i32_i24_e32 v240, 4, v240                            // 000000029F90: 0DE1E084
	v_add_u32_e32 v240, s60, v240                              // 000000029F94: 69E1E03C
	s_mov_b32 s61, 3                                           // 000000029F98: BEBD0083
	s_mul_i32 s60, 16, s7                                      // 000000029F9C: 923C0790
	v_sub_u32_e64 v240, v240, s61                              // 000000029FA0: D13500F0 00007BF0
	v_add_u32_e32 v240, s60, v240                              // 000000029FA8: 69E1E03C
	v_add_u32_e32 v241, 1, v240                                // 000000029FAC: 69E3E081
	v_add_u32_e32 v242, 2, v240                                // 000000029FB0: 69E5E082
	v_add_u32_e32 v243, 3, v240                                // 000000029FB4: 69E7E083
	v_cmp_le_u32_e64 s[40:41], v240, v64                       // 000000029FB8: D0CB0028 000281F0
	v_add_u32_e32 v240, 64, v240                               // 000000029FC0: 69E1E0C0
	s_nop 0                                                    // 000000029FC4: BF800000
	v_cndmask_b32_e64 v160, v66, v160, s[40:41]                // 000000029FC8: D10000A0 00A34142
	v_cmp_le_u32_e64 s[40:41], v241, v64                       // 000000029FD0: D0CB0028 000281F1
	v_add_u32_e32 v241, 64, v241                               // 000000029FD8: 69E3E2C0
	s_nop 0                                                    // 000000029FDC: BF800000
	v_cndmask_b32_e64 v161, v66, v161, s[40:41]                // 000000029FE0: D10000A1 00A34342
	v_cmp_le_u32_e64 s[40:41], v242, v64                       // 000000029FE8: D0CB0028 000281F2
	v_add_u32_e32 v242, 64, v242                               // 000000029FF0: 69E5E4C0
	s_nop 0                                                    // 000000029FF4: BF800000
	v_cndmask_b32_e64 v162, v66, v162, s[40:41]                // 000000029FF8: D10000A2 00A34542
	v_cmp_le_u32_e64 s[40:41], v243, v64                       // 00000002A000: D0CB0028 000281F3
	v_add_u32_e32 v243, 64, v243                               // 00000002A008: 69E7E6C0
	s_nop 0                                                    // 00000002A00C: BF800000
	v_cndmask_b32_e64 v163, v66, v163, s[40:41]                // 00000002A010: D10000A3 00A34742
	v_cmp_le_u32_e64 s[40:41], v240, v64                       // 00000002A018: D0CB0028 000281F0
	v_add_u32_e32 v240, 64, v240                               // 00000002A020: 69E1E0C0
	s_nop 0                                                    // 00000002A024: BF800000
	v_cndmask_b32_e64 v164, v66, v164, s[40:41]                // 00000002A028: D10000A4 00A34942
	v_cmp_le_u32_e64 s[40:41], v241, v64                       // 00000002A030: D0CB0028 000281F1
	v_add_u32_e32 v241, 64, v241                               // 00000002A038: 69E3E2C0
	s_nop 0                                                    // 00000002A03C: BF800000
	v_cndmask_b32_e64 v165, v66, v165, s[40:41]                // 00000002A040: D10000A5 00A34B42
	v_cmp_le_u32_e64 s[40:41], v242, v64                       // 00000002A048: D0CB0028 000281F2
	v_add_u32_e32 v242, 64, v242                               // 00000002A050: 69E5E4C0
	s_nop 0                                                    // 00000002A054: BF800000
	v_cndmask_b32_e64 v166, v66, v166, s[40:41]                // 00000002A058: D10000A6 00A34D42
	v_cmp_le_u32_e64 s[40:41], v243, v64                       // 00000002A060: D0CB0028 000281F3
	v_add_u32_e32 v243, 64, v243                               // 00000002A068: 69E7E6C0
	s_nop 0                                                    // 00000002A06C: BF800000
	v_cndmask_b32_e64 v167, v66, v167, s[40:41]                // 00000002A070: D10000A7 00A34F42
	v_cmp_le_u32_e64 s[40:41], v240, v64                       // 00000002A078: D0CB0028 000281F0
	v_add_u32_e32 v240, 64, v240                               // 00000002A080: 69E1E0C0
	s_nop 0                                                    // 00000002A084: BF800000
	v_cndmask_b32_e64 v168, v66, v168, s[40:41]                // 00000002A088: D10000A8 00A35142
	v_cmp_le_u32_e64 s[40:41], v241, v64                       // 00000002A090: D0CB0028 000281F1
	v_add_u32_e32 v241, 64, v241                               // 00000002A098: 69E3E2C0
	s_nop 0                                                    // 00000002A09C: BF800000
	v_cndmask_b32_e64 v169, v66, v169, s[40:41]                // 00000002A0A0: D10000A9 00A35342
	v_cmp_le_u32_e64 s[40:41], v242, v64                       // 00000002A0A8: D0CB0028 000281F2
	v_add_u32_e32 v242, 64, v242                               // 00000002A0B0: 69E5E4C0
	s_nop 0                                                    // 00000002A0B4: BF800000
	v_cndmask_b32_e64 v170, v66, v170, s[40:41]                // 00000002A0B8: D10000AA 00A35542
	v_cmp_le_u32_e64 s[40:41], v243, v64                       // 00000002A0C0: D0CB0028 000281F3
	v_add_u32_e32 v243, 64, v243                               // 00000002A0C8: 69E7E6C0
	s_nop 0                                                    // 00000002A0CC: BF800000
	v_cndmask_b32_e64 v171, v66, v171, s[40:41]                // 00000002A0D0: D10000AB 00A35742
	v_cmp_le_u32_e64 s[40:41], v240, v64                       // 00000002A0D8: D0CB0028 000281F0
	v_add_u32_e32 v240, 64, v240                               // 00000002A0E0: 69E1E0C0
	s_nop 0                                                    // 00000002A0E4: BF800000
	v_cndmask_b32_e64 v172, v66, v172, s[40:41]                // 00000002A0E8: D10000AC 00A35942
	v_cmp_le_u32_e64 s[40:41], v241, v64                       // 00000002A0F0: D0CB0028 000281F1
	v_add_u32_e32 v241, 64, v241                               // 00000002A0F8: 69E3E2C0
	s_nop 0                                                    // 00000002A0FC: BF800000
	v_cndmask_b32_e64 v173, v66, v173, s[40:41]                // 00000002A100: D10000AD 00A35B42
	v_cmp_le_u32_e64 s[40:41], v242, v64                       // 00000002A108: D0CB0028 000281F2
	v_add_u32_e32 v242, 64, v242                               // 00000002A110: 69E5E4C0
	s_nop 0                                                    // 00000002A114: BF800000
	v_cndmask_b32_e64 v174, v66, v174, s[40:41]                // 00000002A118: D10000AE 00A35D42
	v_cmp_le_u32_e64 s[40:41], v243, v64                       // 00000002A120: D0CB0028 000281F3
	v_add_u32_e32 v243, 64, v243                               // 00000002A128: 69E7E6C0
	s_nop 0                                                    // 00000002A12C: BF800000
	v_cndmask_b32_e64 v175, v66, v175, s[40:41]                // 00000002A130: D10000AF 00A35F42

000000000002a138 <label_9FCE>:
	s_add_u32 s90, s91, s90                                    // 00000002A138: 805A5A5B
	s_and_b32 s60, s72, 0xff                                   // 00000002A13C: 863CFF48 000000FF
	v_mov_b32_e32 v65, s60                                     // 00000002A144: 7E82023C
	v_lshrrev_b32_e32 v240, 4, v0                              // 00000002A148: 21E00084
	v_mul_i32_i24_e32 v240, 4, v240                            // 00000002A14C: 0DE1E084
	s_mul_i32 s60, s7, 16                                      // 00000002A150: 923C9007
	v_add_u32_e32 v240, s60, v240                              // 00000002A154: 69E1E03C
	v_add_u32_e32 v241, 1, v240                                // 00000002A158: 69E3E081
	v_add_u32_e32 v242, 2, v240                                // 00000002A15C: 69E5E082
	v_add_u32_e32 v243, 3, v240                                // 00000002A160: 69E7E083
	v_mov_b32_e32 v64, 0xff800000                              // 00000002A164: 7E8002FF FF800000
	v_cmp_lt_u32_e64 s[40:41], v240, v65                       // 00000002A16C: D0C90028 000283F0
	v_add_u32_e32 v240, 64, v240                               // 00000002A174: 69E1E0C0
	s_nop 0                                                    // 00000002A178: BF800000
	v_cndmask_b32_e64 v160, v64, v160, s[40:41]                // 00000002A17C: D10000A0 00A34140
	v_cmp_lt_u32_e64 s[40:41], v241, v65                       // 00000002A184: D0C90028 000283F1
	v_add_u32_e32 v241, 64, v241                               // 00000002A18C: 69E3E2C0
	s_nop 0                                                    // 00000002A190: BF800000
	v_cndmask_b32_e64 v161, v64, v161, s[40:41]                // 00000002A194: D10000A1 00A34340
	v_cmp_lt_u32_e64 s[40:41], v242, v65                       // 00000002A19C: D0C90028 000283F2
	v_add_u32_e32 v242, 64, v242                               // 00000002A1A4: 69E5E4C0
	s_nop 0                                                    // 00000002A1A8: BF800000
	v_cndmask_b32_e64 v162, v64, v162, s[40:41]                // 00000002A1AC: D10000A2 00A34540
	v_cmp_lt_u32_e64 s[40:41], v243, v65                       // 00000002A1B4: D0C90028 000283F3
	v_add_u32_e32 v243, 64, v243                               // 00000002A1BC: 69E7E6C0
	s_nop 0                                                    // 00000002A1C0: BF800000
	v_cndmask_b32_e64 v163, v64, v163, s[40:41]                // 00000002A1C4: D10000A3 00A34740
	v_cmp_lt_u32_e64 s[40:41], v240, v65                       // 00000002A1CC: D0C90028 000283F0
	v_add_u32_e32 v240, 64, v240                               // 00000002A1D4: 69E1E0C0
	s_nop 0                                                    // 00000002A1D8: BF800000
	v_cndmask_b32_e64 v164, v64, v164, s[40:41]                // 00000002A1DC: D10000A4 00A34940
	v_cmp_lt_u32_e64 s[40:41], v241, v65                       // 00000002A1E4: D0C90028 000283F1
	v_add_u32_e32 v241, 64, v241                               // 00000002A1EC: 69E3E2C0
	s_nop 0                                                    // 00000002A1F0: BF800000
	v_cndmask_b32_e64 v165, v64, v165, s[40:41]                // 00000002A1F4: D10000A5 00A34B40
	v_cmp_lt_u32_e64 s[40:41], v242, v65                       // 00000002A1FC: D0C90028 000283F2
	v_add_u32_e32 v242, 64, v242                               // 00000002A204: 69E5E4C0
	s_nop 0                                                    // 00000002A208: BF800000
	v_cndmask_b32_e64 v166, v64, v166, s[40:41]                // 00000002A20C: D10000A6 00A34D40
	v_cmp_lt_u32_e64 s[40:41], v243, v65                       // 00000002A214: D0C90028 000283F3
	v_add_u32_e32 v243, 64, v243                               // 00000002A21C: 69E7E6C0
	s_nop 0                                                    // 00000002A220: BF800000
	v_cndmask_b32_e64 v167, v64, v167, s[40:41]                // 00000002A224: D10000A7 00A34F40
	v_cmp_lt_u32_e64 s[40:41], v240, v65                       // 00000002A22C: D0C90028 000283F0
	v_add_u32_e32 v240, 64, v240                               // 00000002A234: 69E1E0C0
	s_nop 0                                                    // 00000002A238: BF800000
	v_cndmask_b32_e64 v168, v64, v168, s[40:41]                // 00000002A23C: D10000A8 00A35140
	v_cmp_lt_u32_e64 s[40:41], v241, v65                       // 00000002A244: D0C90028 000283F1
	v_add_u32_e32 v241, 64, v241                               // 00000002A24C: 69E3E2C0
	s_nop 0                                                    // 00000002A250: BF800000
	v_cndmask_b32_e64 v169, v64, v169, s[40:41]                // 00000002A254: D10000A9 00A35340
	v_cmp_lt_u32_e64 s[40:41], v242, v65                       // 00000002A25C: D0C90028 000283F2
	v_add_u32_e32 v242, 64, v242                               // 00000002A264: 69E5E4C0
	s_nop 0                                                    // 00000002A268: BF800000
	v_cndmask_b32_e64 v170, v64, v170, s[40:41]                // 00000002A26C: D10000AA 00A35540
	v_cmp_lt_u32_e64 s[40:41], v243, v65                       // 00000002A274: D0C90028 000283F3
	v_add_u32_e32 v243, 64, v243                               // 00000002A27C: 69E7E6C0
	s_nop 0                                                    // 00000002A280: BF800000
	v_cndmask_b32_e64 v171, v64, v171, s[40:41]                // 00000002A284: D10000AB 00A35740
	v_cmp_lt_u32_e64 s[40:41], v240, v65                       // 00000002A28C: D0C90028 000283F0
	v_add_u32_e32 v240, 64, v240                               // 00000002A294: 69E1E0C0
	s_nop 0                                                    // 00000002A298: BF800000
	v_cndmask_b32_e64 v172, v64, v172, s[40:41]                // 00000002A29C: D10000AC 00A35940
	v_cmp_lt_u32_e64 s[40:41], v241, v65                       // 00000002A2A4: D0C90028 000283F1
	v_add_u32_e32 v241, 64, v241                               // 00000002A2AC: 69E3E2C0
	s_nop 0                                                    // 00000002A2B0: BF800000
	v_cndmask_b32_e64 v173, v64, v173, s[40:41]                // 00000002A2B4: D10000AD 00A35B40
	v_cmp_lt_u32_e64 s[40:41], v242, v65                       // 00000002A2BC: D0C90028 000283F2
	v_add_u32_e32 v242, 64, v242                               // 00000002A2C4: 69E5E4C0
	s_nop 0                                                    // 00000002A2C8: BF800000
	v_cndmask_b32_e64 v174, v64, v174, s[40:41]                // 00000002A2CC: D10000AE 00A35D40
	v_cmp_lt_u32_e64 s[40:41], v243, v65                       // 00000002A2D4: D0C90028 000283F3
	v_add_u32_e32 v243, 64, v243                               // 00000002A2DC: 69E7E6C0
	s_nop 0                                                    // 00000002A2E0: BF800000
	v_cndmask_b32_e64 v175, v64, v175, s[40:41]                // 00000002A2E4: D10000AF 00A35F40
	v_mov_b32_e32 v48, v160                                    // 00000002A2EC: 7E6003A0
	v_max3_f32 v48, v160, v161, v48                            // 00000002A2F0: D1D30030 04C343A0
	v_max3_f32 v48, v162, v163, v48                            // 00000002A2F8: D1D30030 04C347A2
	v_max3_f32 v48, v164, v165, v48                            // 00000002A300: D1D30030 04C34BA4
	v_max3_f32 v48, v166, v167, v48                            // 00000002A308: D1D30030 04C34FA6
	v_max3_f32 v48, v168, v169, v48                            // 00000002A310: D1D30030 04C353A8
	v_max3_f32 v48, v170, v171, v48                            // 00000002A318: D1D30030 04C357AA
	v_max3_f32 v48, v172, v173, v48                            // 00000002A320: D1D30030 04C35BAC
	v_max3_f32 v48, v174, v175, v48                            // 00000002A328: D1D30030 04C35FAE
	ds_write_b32 v8, v48 offset:16896                          // 00000002A330: D81A4200 00003008
	v_mul_f32_e32 v232, v52, v232                              // 00000002A338: 0BD1D134
	v_mul_f32_e32 v233, v52, v233                              // 00000002A33C: 0BD3D334
	v_mul_f32_e32 v234, v52, v234                              // 00000002A340: 0BD5D534
	v_mul_f32_e32 v235, v52, v235                              // 00000002A344: 0BD7D734
	v_mul_f32_e32 v236, v52, v236                              // 00000002A348: 0BD9D934
	v_mul_f32_e32 v237, v52, v237                              // 00000002A34C: 0BDBDB34
	v_mul_f32_e32 v238, v52, v238                              // 00000002A350: 0BDDDD34
	v_mul_f32_e32 v239, v52, v239                              // 00000002A354: 0BDFDF34
	s_waitcnt lgkmcnt(0)                                       // 00000002A358: BF8CC07F
	s_barrier                                                  // 00000002A35C: BF8A0000
	ds_read_b32 v64, v7 offset:16896                           // 00000002A360: D86C4200 40000007
	ds_read_b32 v65, v7 offset:16960                           // 00000002A368: D86C4240 41000007
	ds_read_b32 v66, v7 offset:17024                           // 00000002A370: D86C4280 42000007
	ds_read_b32 v67, v7 offset:17088                           // 00000002A378: D86C42C0 43000007
	ds_read_b32 v68, v7 offset:17152                           // 00000002A380: D86C4300 44000007
	ds_read_b32 v69, v7 offset:17216                           // 00000002A388: D86C4340 45000007
	ds_read_b32 v70, v7 offset:17280                           // 00000002A390: D86C4380 46000007
	ds_read_b32 v71, v7 offset:17344                           // 00000002A398: D86C43C0 47000007
	ds_read_b32 v72, v7 offset:17408                           // 00000002A3A0: D86C4400 48000007
	ds_read_b32 v73, v7 offset:17472                           // 00000002A3A8: D86C4440 49000007
	ds_read_b32 v74, v7 offset:17536                           // 00000002A3B0: D86C4480 4A000007
	ds_read_b32 v75, v7 offset:17600                           // 00000002A3B8: D86C44C0 4B000007
	ds_read_b32 v76, v7 offset:17664                           // 00000002A3C0: D86C4500 4C000007
	ds_read_b32 v77, v7 offset:17728                           // 00000002A3C8: D86C4540 4D000007
	ds_read_b32 v78, v7 offset:17792                           // 00000002A3D0: D86C4580 4E000007
	ds_read_b32 v79, v7 offset:17856                           // 00000002A3D8: D86C45C0 4F000007
	v_mul_f32_e32 v200, v47, v200                              // 00000002A3E0: 0B91912F
	v_mul_f32_e32 v201, v47, v201                              // 00000002A3E4: 0B93932F
	v_mul_f32_e32 v202, v47, v202                              // 00000002A3E8: 0B95952F
	v_mul_f32_e32 v203, v47, v203                              // 00000002A3EC: 0B97972F
	v_mul_f32_e32 v204, v47, v204                              // 00000002A3F0: 0B99992F
	v_mul_f32_e32 v205, v47, v205                              // 00000002A3F4: 0B9B9B2F
	v_mul_f32_e32 v206, v47, v206                              // 00000002A3F8: 0B9D9D2F
	v_mul_f32_e32 v207, v47, v207                              // 00000002A3FC: 0B9F9F2F
	s_waitcnt lgkmcnt(0)                                       // 00000002A400: BF8CC07F
	v_max3_f32 v48, v64, v65, v48                              // 00000002A404: D1D30030 04C28340
	v_max3_f32 v48, v66, v67, v48                              // 00000002A40C: D1D30030 04C28742
	v_max3_f32 v48, v68, v69, v48                              // 00000002A414: D1D30030 04C28B44
	v_max3_f32 v48, v70, v71, v48                              // 00000002A41C: D1D30030 04C28F46
	v_max3_f32 v48, v72, v73, v48                              // 00000002A424: D1D30030 04C29348
	v_max3_f32 v48, v74, v75, v48                              // 00000002A42C: D1D30030 04C2974A
	v_max3_f32 v48, v76, v77, v48                              // 00000002A434: D1D30030 04C29B4C
	v_max3_f32 v48, v78, v79, v48                              // 00000002A43C: D1D30030 04C29F4E
	v_mov_b32_e32 v64, 0xff800000                              // 00000002A444: 7E8002FF FF800000
	v_cmp_eq_u32_e64 s[40:41], v64, v14                        // 00000002A44C: D0CA0028 00021D40
	s_nop 1                                                    // 00000002A454: BF800001
	v_max_f32_e32 v15, v48, v14                                // 00000002A458: 161E1D30
	v_mul_f32_e32 v53, s64, v15                                // 00000002A45C: 0A6A1E40
	v_fma_f32 v160, v160, s64, -v53                            // 00000002A460: D1CB00A0 84D481A0
	v_fma_f32 v161, v161, s64, -v53                            // 00000002A468: D1CB00A1 84D481A1
	v_fma_f32 v162, v162, s64, -v53                            // 00000002A470: D1CB00A2 84D481A2
	v_fma_f32 v163, v163, s64, -v53                            // 00000002A478: D1CB00A3 84D481A3
	v_fma_f32 v164, v164, s64, -v53                            // 00000002A480: D1CB00A4 84D481A4
	v_fma_f32 v165, v165, s64, -v53                            // 00000002A488: D1CB00A5 84D481A5
	v_fma_f32 v166, v166, s64, -v53                            // 00000002A490: D1CB00A6 84D481A6
	v_fma_f32 v167, v167, s64, -v53                            // 00000002A498: D1CB00A7 84D481A7
	v_fma_f32 v168, v168, s64, -v53                            // 00000002A4A0: D1CB00A8 84D481A8
	v_fma_f32 v169, v169, s64, -v53                            // 00000002A4A8: D1CB00A9 84D481A9
	v_fma_f32 v170, v170, s64, -v53                            // 00000002A4B0: D1CB00AA 84D481AA
	v_fma_f32 v171, v171, s64, -v53                            // 00000002A4B8: D1CB00AB 84D481AB
	v_fma_f32 v172, v172, s64, -v53                            // 00000002A4C0: D1CB00AC 84D481AC
	v_fma_f32 v173, v173, s64, -v53                            // 00000002A4C8: D1CB00AD 84D481AD
	v_fma_f32 v174, v174, s64, -v53                            // 00000002A4D0: D1CB00AE 84D481AE
	v_fma_f32 v175, v175, s64, -v53                            // 00000002A4D8: D1CB00AF 84D481AF
	v_exp_f32_e32 v160, v160                                   // 00000002A4E0: 7F4041A0
	v_exp_f32_e32 v161, v161                                   // 00000002A4E4: 7F4241A1
	v_exp_f32_e32 v162, v162                                   // 00000002A4E8: 7F4441A2
	v_exp_f32_e32 v163, v163                                   // 00000002A4EC: 7F4641A3
	v_exp_f32_e32 v164, v164                                   // 00000002A4F0: 7F4841A4
	v_exp_f32_e32 v165, v165                                   // 00000002A4F4: 7F4A41A5
	v_exp_f32_e32 v166, v166                                   // 00000002A4F8: 7F4C41A6
	v_exp_f32_e32 v167, v167                                   // 00000002A4FC: 7F4E41A7
	v_exp_f32_e32 v168, v168                                   // 00000002A500: 7F5041A8
	v_exp_f32_e32 v169, v169                                   // 00000002A504: 7F5241A9
	v_exp_f32_e32 v170, v170                                   // 00000002A508: 7F5441AA
	v_exp_f32_e32 v171, v171                                   // 00000002A50C: 7F5641AB
	v_exp_f32_e32 v172, v172                                   // 00000002A510: 7F5841AC
	v_exp_f32_e32 v173, v173                                   // 00000002A514: 7F5A41AD
	v_exp_f32_e32 v174, v174                                   // 00000002A518: 7F5C41AE
	v_exp_f32_e32 v175, v175                                   // 00000002A51C: 7F5E41AF
	v_mul_f32_dpp v240, v252, v160 quad_perm:[0,0,0,0] row_mask:0xf bank_mask:0xf// 00000002A520: 0BE140FA FF0000FC
	v_mul_f32_dpp v241, v252, v161 quad_perm:[1,1,1,1] row_mask:0xf bank_mask:0xf// 00000002A528: 0BE342FA FF0055FC
	v_mul_f32_dpp v242, v252, v162 quad_perm:[2,2,2,2] row_mask:0xf bank_mask:0xf// 00000002A530: 0BE544FA FF00AAFC
	v_mul_f32_dpp v243, v252, v163 quad_perm:[3,3,3,3] row_mask:0xf bank_mask:0xf// 00000002A538: 0BE746FA FF00FFFC
	v_mul_f32_dpp v244, v253, v164 quad_perm:[0,0,0,0] row_mask:0xf bank_mask:0xf// 00000002A540: 0BE948FA FF0000FD
	v_mul_f32_dpp v245, v253, v165 quad_perm:[1,1,1,1] row_mask:0xf bank_mask:0xf// 00000002A548: 0BEB4AFA FF0055FD
	v_mul_f32_dpp v246, v253, v166 quad_perm:[2,2,2,2] row_mask:0xf bank_mask:0xf// 00000002A550: 0BED4CFA FF00AAFD
	v_mul_f32_dpp v247, v253, v167 quad_perm:[3,3,3,3] row_mask:0xf bank_mask:0xf// 00000002A558: 0BEF4EFA FF00FFFD
	v_mul_f32_dpp v248, v254, v168 quad_perm:[0,0,0,0] row_mask:0xf bank_mask:0xf// 00000002A560: 0BF150FA FF0000FE
	v_mul_f32_dpp v249, v254, v169 quad_perm:[1,1,1,1] row_mask:0xf bank_mask:0xf// 00000002A568: 0BF352FA FF0055FE
	v_mul_f32_dpp v250, v254, v170 quad_perm:[2,2,2,2] row_mask:0xf bank_mask:0xf// 00000002A570: 0BF554FA FF00AAFE
	v_mul_f32_dpp v251, v254, v171 quad_perm:[3,3,3,3] row_mask:0xf bank_mask:0xf// 00000002A578: 0BF756FA FF00FFFE
	v_mul_f32_dpp v252, v255, v172 quad_perm:[0,0,0,0] row_mask:0xf bank_mask:0xf// 00000002A580: 0BF958FA FF0000FF
	v_mul_f32_dpp v253, v255, v173 quad_perm:[1,1,1,1] row_mask:0xf bank_mask:0xf// 00000002A588: 0BFB5AFA FF0055FF
	v_mul_f32_dpp v254, v255, v174 quad_perm:[2,2,2,2] row_mask:0xf bank_mask:0xf// 00000002A590: 0BFD5CFA FF00AAFF
	v_mul_f32_dpp v255, v255, v175 quad_perm:[3,3,3,3] row_mask:0xf bank_mask:0xf// 00000002A598: 0BFF5EFA FF00FFFF
	v_mov_b32_e32 v48, 0x358637bd                              // 00000002A5A0: 7E6002FF 358637BD
	v_max3_f32 v48, |v240|, |v241|, v48                        // 00000002A5A8: D1D30330 04C3E3F0
	v_max3_f32 v48, |v242|, |v243|, v48                        // 00000002A5B0: D1D30330 04C3E7F2
	v_max3_f32 v48, |v244|, |v245|, v48                        // 00000002A5B8: D1D30330 04C3EBF4
	v_max3_f32 v48, |v246|, |v247|, v48                        // 00000002A5C0: D1D30330 04C3EFF6
	v_max3_f32 v48, |v248|, |v249|, v48                        // 00000002A5C8: D1D30330 04C3F3F8
	v_max3_f32 v48, |v250|, |v251|, v48                        // 00000002A5D0: D1D30330 04C3F7FA
	v_max3_f32 v48, |v252|, |v253|, v48                        // 00000002A5D8: D1D30330 04C3FBFC
	v_max3_f32 v48, |v254|, |v255|, v48                        // 00000002A5E0: D1D30330 04C3FFFE
	ds_write_b32 v8, v48 offset:20992                          // 00000002A5E8: D81A5200 00003008
	v_sub_f32_e32 v52, v14, v15                                // 00000002A5F0: 04681F0E
	v_cndmask_b32_e64 v52, v52, 0, s[40:41]                    // 00000002A5F4: D1000034 00A10134
	v_mov_b32_e32 v14, v15                                     // 00000002A5FC: 7E1C030F
	v_mul_f32_e32 v52, s64, v52                                // 00000002A600: 0A686840
	v_exp_f32_e32 v52, v52                                     // 00000002A604: 7E684134
	s_waitcnt lgkmcnt(0)                                       // 00000002A608: BF8CC07F
	s_barrier                                                  // 00000002A60C: BF8A0000
	ds_read_b32 v64, v7 offset:20992                           // 00000002A610: D86C5200 40000007
	ds_read_b32 v65, v7 offset:21056                           // 00000002A618: D86C5240 41000007
	ds_read_b32 v66, v7 offset:21120                           // 00000002A620: D86C5280 42000007
	ds_read_b32 v67, v7 offset:21184                           // 00000002A628: D86C52C0 43000007
	ds_read_b32 v68, v7 offset:21248                           // 00000002A630: D86C5300 44000007
	ds_read_b32 v69, v7 offset:21312                           // 00000002A638: D86C5340 45000007
	ds_read_b32 v70, v7 offset:21376                           // 00000002A640: D86C5380 46000007
	ds_read_b32 v71, v7 offset:21440                           // 00000002A648: D86C53C0 47000007
	ds_read_b32 v72, v7 offset:21504                           // 00000002A650: D86C5400 48000007
	ds_read_b32 v73, v7 offset:21568                           // 00000002A658: D86C5440 49000007
	ds_read_b32 v74, v7 offset:21632                           // 00000002A660: D86C5480 4A000007
	ds_read_b32 v75, v7 offset:21696                           // 00000002A668: D86C54C0 4B000007
	ds_read_b32 v76, v7 offset:21760                           // 00000002A670: D86C5500 4C000007
	ds_read_b32 v77, v7 offset:21824                           // 00000002A678: D86C5540 4D000007
	ds_read_b32 v78, v7 offset:21888                           // 00000002A680: D86C5580 4E000007
	ds_read_b32 v79, v7 offset:21952                           // 00000002A688: D86C55C0 4F000007
	v_mul_f32_e32 v41, v52, v41                                // 00000002A690: 0A525334
	v_mov_b32_e32 v15, v160                                    // 00000002A694: 7E1E03A0
	v_add_f32_e32 v15, v161, v15                               // 00000002A698: 021E1FA1
	v_add_f32_e32 v15, v162, v15                               // 00000002A69C: 021E1FA2
	v_add_f32_e32 v15, v163, v15                               // 00000002A6A0: 021E1FA3
	v_add_f32_e32 v15, v164, v15                               // 00000002A6A4: 021E1FA4
	v_add_f32_e32 v15, v165, v15                               // 00000002A6A8: 021E1FA5
	v_add_f32_e32 v15, v166, v15                               // 00000002A6AC: 021E1FA6
	v_add_f32_e32 v15, v167, v15                               // 00000002A6B0: 021E1FA7
	v_add_f32_e32 v15, v168, v15                               // 00000002A6B4: 021E1FA8
	v_add_f32_e32 v15, v169, v15                               // 00000002A6B8: 021E1FA9
	v_add_f32_e32 v15, v170, v15                               // 00000002A6BC: 021E1FAA
	v_add_f32_e32 v15, v171, v15                               // 00000002A6C0: 021E1FAB
	v_add_f32_e32 v15, v172, v15                               // 00000002A6C4: 021E1FAC
	v_add_f32_e32 v15, v173, v15                               // 00000002A6C8: 021E1FAD
	v_add_f32_e32 v15, v174, v15                               // 00000002A6CC: 021E1FAE
	v_add_f32_e32 v15, v175, v15                               // 00000002A6D0: 021E1FAF
	v_add_f32_e32 v41, v15, v41                                // 00000002A6D4: 0252530F
	s_waitcnt lgkmcnt(0)                                       // 00000002A6D8: BF8CC07F
	v_max3_f32 v48, |v64|, |v65|, v48                          // 00000002A6DC: D1D30330 04C28340
	v_max3_f32 v48, |v66|, |v67|, v48                          // 00000002A6E4: D1D30330 04C28742
	v_max3_f32 v48, |v68|, |v69|, v48                          // 00000002A6EC: D1D30330 04C28B44
	v_max3_f32 v48, |v70|, |v71|, v48                          // 00000002A6F4: D1D30330 04C28F46
	v_max3_f32 v48, |v72|, |v73|, v48                          // 00000002A6FC: D1D30330 04C29348
	v_max3_f32 v48, |v74|, |v75|, v48                          // 00000002A704: D1D30330 04C2974A
	v_max3_f32 v48, |v76|, |v77|, v48                          // 00000002A70C: D1D30330 04C29B4C
	v_max3_f32 v48, |v78|, |v79|, v48                          // 00000002A714: D1D30330 04C29F4E
	s_nop 2                                                    // 00000002A71C: BF800002
	v_rcp_f32_e32 v48, v48                                     // 00000002A720: 7E604530
	s_nop 1                                                    // 00000002A724: BF800001
	v_mul_f32_e32 v48, 0x43700000, v48                         // 00000002A728: 0A6060FF 43700000
	v_mul_f32_e32 v160, v48, v240                              // 00000002A730: 0B41E130
	v_mul_f32_e32 v161, v48, v241                              // 00000002A734: 0B43E330
	v_mul_f32_e32 v162, v48, v242                              // 00000002A738: 0B45E530
	v_mul_f32_e32 v163, v48, v243                              // 00000002A73C: 0B47E730
	v_mul_f32_e32 v164, v48, v244                              // 00000002A740: 0B49E930
	v_mul_f32_e32 v165, v48, v245                              // 00000002A744: 0B4BEB30
	v_mul_f32_e32 v166, v48, v246                              // 00000002A748: 0B4DED30
	v_mul_f32_e32 v167, v48, v247                              // 00000002A74C: 0B4FEF30
	v_mul_f32_e32 v168, v48, v248                              // 00000002A750: 0B51F130
	v_mul_f32_e32 v169, v48, v249                              // 00000002A754: 0B53F330
	v_mul_f32_e32 v170, v48, v250                              // 00000002A758: 0B55F530
	v_mul_f32_e32 v171, v48, v251                              // 00000002A75C: 0B57F730
	v_mul_f32_e32 v172, v48, v252                              // 00000002A760: 0B59F930
	v_mul_f32_e32 v173, v48, v253                              // 00000002A764: 0B5BFB30
	v_mul_f32_e32 v174, v48, v254                              // 00000002A768: 0B5DFD30
	v_mul_f32_e32 v175, v48, v255                              // 00000002A76C: 0B5FFF30
	v_cvt_pk_fp8_f32 v160, v160, v161                          // 00000002A770: D2A200A0 000343A0
	v_cvt_pk_fp8_f32 v160, v162, v163 op_sel:[0,0,1]           // 00000002A778: D2A240A0 000347A2
	v_cvt_pk_fp8_f32 v161, v164, v165                          // 00000002A780: D2A200A1 00034BA4
	v_cvt_pk_fp8_f32 v161, v166, v167 op_sel:[0,0,1]           // 00000002A788: D2A240A1 00034FA6
	v_cvt_pk_fp8_f32 v162, v168, v169                          // 00000002A790: D2A200A2 000353A8
	v_cvt_pk_fp8_f32 v162, v170, v171 op_sel:[0,0,1]           // 00000002A798: D2A240A2 000357AA
	v_cvt_pk_fp8_f32 v163, v172, v173                          // 00000002A7A0: D2A200A3 00035BAC
	v_cvt_pk_fp8_f32 v163, v174, v175 op_sel:[0,0,1]           // 00000002A7A8: D2A240A3 00035FAE
	ds_write_b32 v10, v160 offset:37376                        // 00000002A7B0: D81A9200 0000A00A
	ds_write_b32 v10, v161 offset:38400                        // 00000002A7B8: D81A9600 0000A10A
	ds_write_b32 v10, v162 offset:39424                        // 00000002A7C0: D81A9A00 0000A20A
	ds_write_b32 v10, v163 offset:40448                        // 00000002A7C8: D81A9E00 0000A30A
	v_add_f32_e32 v232, v232, v200                             // 00000002A7D0: 03D191E8
	v_add_f32_e32 v233, v233, v201                             // 00000002A7D4: 03D393E9
	v_add_f32_e32 v234, v234, v202                             // 00000002A7D8: 03D595EA
	v_add_f32_e32 v235, v235, v203                             // 00000002A7DC: 03D797EB
	v_add_f32_e32 v236, v236, v204                             // 00000002A7E0: 03D999EC
	v_add_f32_e32 v237, v237, v205                             // 00000002A7E4: 03DB9BED
	v_add_f32_e32 v238, v238, v206                             // 00000002A7E8: 03DD9DEE
	v_add_f32_e32 v239, v239, v207                             // 00000002A7EC: 03DF9FEF
	v_rcp_f32_e32 v47, v48                                     // 00000002A7F0: 7E5E4530
	s_waitcnt lgkmcnt(0)                                       // 00000002A7F4: BF8CC07F
	s_barrier                                                  // 00000002A7F8: BF8A0000
	ds_read_b64 v[160:161], v9 offset:37376                    // 00000002A7FC: D8EC9200 A0000009
	ds_read_b64 v[162:163], v9 offset:37504                    // 00000002A804: D8EC9280 A2000009
	ds_read_b64 v[164:165], v9 offset:38400                    // 00000002A80C: D8EC9600 A4000009
	ds_read_b64 v[166:167], v9 offset:38528                    // 00000002A814: D8EC9680 A6000009
	ds_read_b64 v[168:169], v9 offset:39424                    // 00000002A81C: D8EC9A00 A8000009
	ds_read_b64 v[170:171], v9 offset:39552                    // 00000002A824: D8EC9A80 AA000009
	ds_read_b64 v[172:173], v9 offset:40448                    // 00000002A82C: D8EC9E00 AC000009
	ds_read_b64 v[174:175], v9 offset:40576                    // 00000002A834: D8EC9E80 AE000009
	s_waitcnt vmcnt(0)                                         // 00000002A83C: BF8C0F70
	s_barrier                                                  // 00000002A840: BF8A0000
	v_mfma_f32_16x16x32_fp8_fp8 v[176:179], a[64:65], v[112:113], 0// 00000002A844: D3F300B0 0A02E140
	v_mfma_f32_16x16x32_fp8_fp8 v[176:179], a[66:67], v[114:115], v[176:179]// 00000002A84C: D3F300B0 0EC2E542
	v_mfma_f32_16x16x32_fp8_fp8 v[176:179], a[68:69], v[116:117], v[176:179]// 00000002A854: D3F300B0 0EC2E944
	v_mfma_f32_16x16x32_fp8_fp8 v[176:179], a[70:71], v[118:119], v[176:179]// 00000002A85C: D3F300B0 0EC2ED46
	v_mfma_f32_16x16x32_fp8_fp8 v[176:179], a[72:73], v[120:121], v[176:179]// 00000002A864: D3F300B0 0EC2F148
	v_mfma_f32_16x16x32_fp8_fp8 v[176:179], a[74:75], v[122:123], v[176:179]// 00000002A86C: D3F300B0 0EC2F54A
	v_mfma_f32_16x16x32_fp8_fp8 v[176:179], a[76:77], v[124:125], v[176:179]// 00000002A874: D3F300B0 0EC2F94C
	v_mfma_f32_16x16x32_fp8_fp8 v[176:179], a[78:79], v[126:127], v[176:179]// 00000002A87C: D3F300B0 0EC2FD4E
	v_mfma_f32_16x16x32_fp8_fp8 v[180:183], a[80:81], v[112:113], 0// 00000002A884: D3F300B4 0A02E150
	v_mfma_f32_16x16x32_fp8_fp8 v[180:183], a[82:83], v[114:115], v[180:183]// 00000002A88C: D3F300B4 0ED2E552
	v_mfma_f32_16x16x32_fp8_fp8 v[180:183], a[84:85], v[116:117], v[180:183]// 00000002A894: D3F300B4 0ED2E954
	v_mfma_f32_16x16x32_fp8_fp8 v[180:183], a[86:87], v[118:119], v[180:183]// 00000002A89C: D3F300B4 0ED2ED56
	v_mfma_f32_16x16x32_fp8_fp8 v[180:183], a[88:89], v[120:121], v[180:183]// 00000002A8A4: D3F300B4 0ED2F158
	v_mfma_f32_16x16x32_fp8_fp8 v[180:183], a[90:91], v[122:123], v[180:183]// 00000002A8AC: D3F300B4 0ED2F55A
	v_mfma_f32_16x16x32_fp8_fp8 v[180:183], a[92:93], v[124:125], v[180:183]// 00000002A8B4: D3F300B4 0ED2F95C
	v_mfma_f32_16x16x32_fp8_fp8 v[180:183], a[94:95], v[126:127], v[180:183]// 00000002A8BC: D3F300B4 0ED2FD5E
	v_mfma_f32_16x16x32_fp8_fp8 v[184:187], a[64:65], v[128:129], 0// 00000002A8C4: D3F300B8 0A030140
	v_mfma_f32_16x16x32_fp8_fp8 v[184:187], a[66:67], v[130:131], v[184:187]// 00000002A8CC: D3F300B8 0EE30542
	v_mfma_f32_16x16x32_fp8_fp8 v[184:187], a[68:69], v[132:133], v[184:187]// 00000002A8D4: D3F300B8 0EE30944
	v_mfma_f32_16x16x32_fp8_fp8 v[184:187], a[70:71], v[134:135], v[184:187]// 00000002A8DC: D3F300B8 0EE30D46
	v_mfma_f32_16x16x32_fp8_fp8 v[184:187], a[72:73], v[136:137], v[184:187]// 00000002A8E4: D3F300B8 0EE31148
	v_mfma_f32_16x16x32_fp8_fp8 v[184:187], a[74:75], v[138:139], v[184:187]// 00000002A8EC: D3F300B8 0EE3154A
	v_mfma_f32_16x16x32_fp8_fp8 v[184:187], a[76:77], v[140:141], v[184:187]// 00000002A8F4: D3F300B8 0EE3194C
	v_mfma_f32_16x16x32_fp8_fp8 v[184:187], a[78:79], v[142:143], v[184:187]// 00000002A8FC: D3F300B8 0EE31D4E
	v_mfma_f32_16x16x32_fp8_fp8 v[188:191], a[80:81], v[128:129], 0// 00000002A904: D3F300BC 0A030150
	v_mfma_f32_16x16x32_fp8_fp8 v[188:191], a[82:83], v[130:131], v[188:191]// 00000002A90C: D3F300BC 0EF30552
	v_mfma_f32_16x16x32_fp8_fp8 v[188:191], a[84:85], v[132:133], v[188:191]// 00000002A914: D3F300BC 0EF30954
	v_mfma_f32_16x16x32_fp8_fp8 v[188:191], a[86:87], v[134:135], v[188:191]// 00000002A91C: D3F300BC 0EF30D56
	v_mfma_f32_16x16x32_fp8_fp8 v[188:191], a[88:89], v[136:137], v[188:191]// 00000002A924: D3F300BC 0EF31158
	v_mfma_f32_16x16x32_fp8_fp8 v[188:191], a[90:91], v[138:139], v[188:191]// 00000002A92C: D3F300BC 0EF3155A
	v_mfma_f32_16x16x32_fp8_fp8 v[188:191], a[92:93], v[140:141], v[188:191]// 00000002A934: D3F300BC 0EF3195C
	v_mfma_f32_16x16x32_fp8_fp8 v[188:191], a[94:95], v[142:143], v[188:191]// 00000002A93C: D3F300BC 0EF31D5E
	v_mfma_f32_16x16x32_fp8_fp8 v[192:195], a[64:65], v[144:145], 0// 00000002A944: D3F300C0 0A032140
	v_mfma_f32_16x16x32_fp8_fp8 v[192:195], a[66:67], v[146:147], v[192:195]// 00000002A94C: D3F300C0 0F032542
	v_mfma_f32_16x16x32_fp8_fp8 v[192:195], a[68:69], v[148:149], v[192:195]// 00000002A954: D3F300C0 0F032944
	v_mfma_f32_16x16x32_fp8_fp8 v[192:195], a[70:71], v[150:151], v[192:195]// 00000002A95C: D3F300C0 0F032D46
	v_mfma_f32_16x16x32_fp8_fp8 v[192:195], a[72:73], v[152:153], v[192:195]// 00000002A964: D3F300C0 0F033148
	v_mfma_f32_16x16x32_fp8_fp8 v[192:195], a[74:75], v[154:155], v[192:195]// 00000002A96C: D3F300C0 0F03354A
	v_mfma_f32_16x16x32_fp8_fp8 v[192:195], a[76:77], v[156:157], v[192:195]// 00000002A974: D3F300C0 0F03394C
	v_mfma_f32_16x16x32_fp8_fp8 v[192:195], a[78:79], v[158:159], v[192:195]// 00000002A97C: D3F300C0 0F033D4E
	v_mfma_f32_16x16x32_fp8_fp8 v[196:199], a[80:81], v[144:145], 0// 00000002A984: D3F300C4 0A032150
	v_mfma_f32_16x16x32_fp8_fp8 v[196:199], a[82:83], v[146:147], v[196:199]// 00000002A98C: D3F300C4 0F132552
	v_mfma_f32_16x16x32_fp8_fp8 v[196:199], a[84:85], v[148:149], v[196:199]// 00000002A994: D3F300C4 0F132954
	v_mfma_f32_16x16x32_fp8_fp8 v[196:199], a[86:87], v[150:151], v[196:199]// 00000002A99C: D3F300C4 0F132D56
	v_mfma_f32_16x16x32_fp8_fp8 v[196:199], a[88:89], v[152:153], v[196:199]// 00000002A9A4: D3F300C4 0F133158
	v_mfma_f32_16x16x32_fp8_fp8 v[196:199], a[90:91], v[154:155], v[196:199]// 00000002A9AC: D3F300C4 0F13355A
	v_mfma_f32_16x16x32_fp8_fp8 v[196:199], a[92:93], v[156:157], v[196:199]// 00000002A9B4: D3F300C4 0F13395C
	v_mfma_f32_16x16x32_fp8_fp8 v[196:199], a[94:95], v[158:159], v[196:199]// 00000002A9BC: D3F300C4 0F133D5E
	v_mfma_f32_16x16x32_fp8_fp8 v[200:203], a[64:65], v[160:161], 0// 00000002A9C4: D3F300C8 0A034140
	v_mfma_f32_16x16x32_fp8_fp8 v[200:203], a[66:67], v[162:163], v[200:203]// 00000002A9CC: D3F300C8 0F234542
	v_mfma_f32_16x16x32_fp8_fp8 v[200:203], a[68:69], v[164:165], v[200:203]// 00000002A9D4: D3F300C8 0F234944
	v_mfma_f32_16x16x32_fp8_fp8 v[200:203], a[70:71], v[166:167], v[200:203]// 00000002A9DC: D3F300C8 0F234D46
	v_mfma_f32_16x16x32_fp8_fp8 v[200:203], a[72:73], v[168:169], v[200:203]// 00000002A9E4: D3F300C8 0F235148
	v_mfma_f32_16x16x32_fp8_fp8 v[200:203], a[74:75], v[170:171], v[200:203]// 00000002A9EC: D3F300C8 0F23554A
	v_mfma_f32_16x16x32_fp8_fp8 v[200:203], a[76:77], v[172:173], v[200:203]// 00000002A9F4: D3F300C8 0F23594C
	v_mfma_f32_16x16x32_fp8_fp8 v[200:203], a[78:79], v[174:175], v[200:203]// 00000002A9FC: D3F300C8 0F235D4E
	v_mfma_f32_16x16x32_fp8_fp8 v[204:207], a[80:81], v[160:161], 0// 00000002AA04: D3F300CC 0A034150
	v_mfma_f32_16x16x32_fp8_fp8 v[204:207], a[82:83], v[162:163], v[204:207]// 00000002AA0C: D3F300CC 0F334552
	v_mfma_f32_16x16x32_fp8_fp8 v[204:207], a[84:85], v[164:165], v[204:207]// 00000002AA14: D3F300CC 0F334954
	v_mfma_f32_16x16x32_fp8_fp8 v[204:207], a[86:87], v[166:167], v[204:207]// 00000002AA1C: D3F300CC 0F334D56
	v_mfma_f32_16x16x32_fp8_fp8 v[204:207], a[88:89], v[168:169], v[204:207]// 00000002AA24: D3F300CC 0F335158
	v_mfma_f32_16x16x32_fp8_fp8 v[204:207], a[90:91], v[170:171], v[204:207]// 00000002AA2C: D3F300CC 0F33555A
	v_mfma_f32_16x16x32_fp8_fp8 v[204:207], a[92:93], v[172:173], v[204:207]// 00000002AA34: D3F300CC 0F33595C
	v_mfma_f32_16x16x32_fp8_fp8 v[204:207], a[94:95], v[174:175], v[204:207]// 00000002AA3C: D3F300CC 0F335D5E
	s_nop 4                                                    // 00000002AA44: BF800004
	s_branch label_AD82                                        // 00000002AA48: BF820B6F

000000000002aa4c <label_A213>:
	s_waitcnt vmcnt(8) lgkmcnt(0)                              // 00000002AA4C: BF8C0078
	s_barrier                                                  // 00000002AA50: BF8A0000
	v_mfma_f32_16x16x32_fp8_fp8 v[112:115], a[32:33], v[80:81], 0// 00000002AA54: D3F30070 0A02A120
	v_mfma_f32_16x16x32_fp8_fp8 v[112:115], a[34:35], v[82:83], v[112:115]// 00000002AA5C: D3F30070 0DC2A522
	v_mfma_f32_16x16x32_fp8_fp8 v[112:115], a[36:37], v[84:85], v[112:115]// 00000002AA64: D3F30070 0DC2A924
	v_mfma_f32_16x16x32_fp8_fp8 v[112:115], a[38:39], v[86:87], v[112:115]// 00000002AA6C: D3F30070 0DC2AD26
	v_mfma_f32_16x16x32_fp8_fp8 v[116:119], a[40:41], v[80:81], 0// 00000002AA74: D3F30074 0A02A128
	v_mfma_f32_16x16x32_fp8_fp8 v[116:119], a[42:43], v[82:83], v[116:119]// 00000002AA7C: D3F30074 0DD2A52A
	v_mfma_f32_16x16x32_fp8_fp8 v[116:119], a[44:45], v[84:85], v[116:119]// 00000002AA84: D3F30074 0DD2A92C
	v_mfma_f32_16x16x32_fp8_fp8 v[116:119], a[46:47], v[86:87], v[116:119]// 00000002AA8C: D3F30074 0DD2AD2E
	v_mfma_f32_16x16x32_fp8_fp8 v[120:123], a[48:49], v[80:81], 0// 00000002AA94: D3F30078 0A02A130
	v_mfma_f32_16x16x32_fp8_fp8 v[120:123], a[50:51], v[82:83], v[120:123]// 00000002AA9C: D3F30078 0DE2A532
	v_mfma_f32_16x16x32_fp8_fp8 v[120:123], a[52:53], v[84:85], v[120:123]// 00000002AAA4: D3F30078 0DE2A934
	v_mfma_f32_16x16x32_fp8_fp8 v[120:123], a[54:55], v[86:87], v[120:123]// 00000002AAAC: D3F30078 0DE2AD36
	v_mfma_f32_16x16x32_fp8_fp8 v[124:127], a[56:57], v[80:81], 0// 00000002AAB4: D3F3007C 0A02A138
	v_mfma_f32_16x16x32_fp8_fp8 v[124:127], a[58:59], v[82:83], v[124:127]// 00000002AABC: D3F3007C 0DF2A53A
	v_mfma_f32_16x16x32_fp8_fp8 v[124:127], a[60:61], v[84:85], v[124:127]// 00000002AAC4: D3F3007C 0DF2A93C
	v_mfma_f32_16x16x32_fp8_fp8 v[124:127], a[62:63], v[86:87], v[124:127]// 00000002AACC: D3F3007C 0DF2AD3E
	v_mfma_f32_16x16x32_fp8_fp8 v[128:131], a[32:33], v[88:89], 0// 00000002AAD4: D3F30080 0A02B120
	v_mfma_f32_16x16x32_fp8_fp8 v[128:131], a[34:35], v[90:91], v[128:131]// 00000002AADC: D3F30080 0E02B522
	v_mfma_f32_16x16x32_fp8_fp8 v[128:131], a[36:37], v[92:93], v[128:131]// 00000002AAE4: D3F30080 0E02B924
	v_mfma_f32_16x16x32_fp8_fp8 v[128:131], a[38:39], v[94:95], v[128:131]// 00000002AAEC: D3F30080 0E02BD26
	v_mfma_f32_16x16x32_fp8_fp8 v[132:135], a[40:41], v[88:89], 0// 00000002AAF4: D3F30084 0A02B128
	v_mfma_f32_16x16x32_fp8_fp8 v[132:135], a[42:43], v[90:91], v[132:135]// 00000002AAFC: D3F30084 0E12B52A
	v_mfma_f32_16x16x32_fp8_fp8 v[132:135], a[44:45], v[92:93], v[132:135]// 00000002AB04: D3F30084 0E12B92C
	v_mfma_f32_16x16x32_fp8_fp8 v[132:135], a[46:47], v[94:95], v[132:135]// 00000002AB0C: D3F30084 0E12BD2E
	v_mfma_f32_16x16x32_fp8_fp8 v[136:139], a[48:49], v[88:89], 0// 00000002AB14: D3F30088 0A02B130
	v_mfma_f32_16x16x32_fp8_fp8 v[136:139], a[50:51], v[90:91], v[136:139]// 00000002AB1C: D3F30088 0E22B532
	v_mfma_f32_16x16x32_fp8_fp8 v[136:139], a[52:53], v[92:93], v[136:139]// 00000002AB24: D3F30088 0E22B934
	v_mfma_f32_16x16x32_fp8_fp8 v[136:139], a[54:55], v[94:95], v[136:139]// 00000002AB2C: D3F30088 0E22BD36
	v_mfma_f32_16x16x32_fp8_fp8 v[140:143], a[56:57], v[88:89], 0// 00000002AB34: D3F3008C 0A02B138
	v_mfma_f32_16x16x32_fp8_fp8 v[140:143], a[58:59], v[90:91], v[140:143]// 00000002AB3C: D3F3008C 0E32B53A
	v_mfma_f32_16x16x32_fp8_fp8 v[140:143], a[60:61], v[92:93], v[140:143]// 00000002AB44: D3F3008C 0E32B93C
	v_mfma_f32_16x16x32_fp8_fp8 v[140:143], a[62:63], v[94:95], v[140:143]// 00000002AB4C: D3F3008C 0E32BD3E
	v_mfma_f32_16x16x32_fp8_fp8 v[144:147], a[32:33], v[96:97], 0// 00000002AB54: D3F30090 0A02C120
	v_mfma_f32_16x16x32_fp8_fp8 v[144:147], a[34:35], v[98:99], v[144:147]// 00000002AB5C: D3F30090 0E42C522
	v_mfma_f32_16x16x32_fp8_fp8 v[144:147], a[36:37], v[100:101], v[144:147]// 00000002AB64: D3F30090 0E42C924
	v_mfma_f32_16x16x32_fp8_fp8 v[144:147], a[38:39], v[102:103], v[144:147]// 00000002AB6C: D3F30090 0E42CD26
	v_mfma_f32_16x16x32_fp8_fp8 v[148:151], a[40:41], v[96:97], 0// 00000002AB74: D3F30094 0A02C128
	v_mfma_f32_16x16x32_fp8_fp8 v[148:151], a[42:43], v[98:99], v[148:151]// 00000002AB7C: D3F30094 0E52C52A
	v_mfma_f32_16x16x32_fp8_fp8 v[148:151], a[44:45], v[100:101], v[148:151]// 00000002AB84: D3F30094 0E52C92C
	v_mfma_f32_16x16x32_fp8_fp8 v[148:151], a[46:47], v[102:103], v[148:151]// 00000002AB8C: D3F30094 0E52CD2E
	v_mfma_f32_16x16x32_fp8_fp8 v[152:155], a[48:49], v[96:97], 0// 00000002AB94: D3F30098 0A02C130
	v_mfma_f32_16x16x32_fp8_fp8 v[152:155], a[50:51], v[98:99], v[152:155]// 00000002AB9C: D3F30098 0E62C532
	v_mfma_f32_16x16x32_fp8_fp8 v[152:155], a[52:53], v[100:101], v[152:155]// 00000002ABA4: D3F30098 0E62C934
	v_mfma_f32_16x16x32_fp8_fp8 v[152:155], a[54:55], v[102:103], v[152:155]// 00000002ABAC: D3F30098 0E62CD36
	v_mfma_f32_16x16x32_fp8_fp8 v[156:159], a[56:57], v[96:97], 0// 00000002ABB4: D3F3009C 0A02C138
	v_mfma_f32_16x16x32_fp8_fp8 v[156:159], a[58:59], v[98:99], v[156:159]// 00000002ABBC: D3F3009C 0E72C53A
	v_mfma_f32_16x16x32_fp8_fp8 v[156:159], a[60:61], v[100:101], v[156:159]// 00000002ABC4: D3F3009C 0E72C93C
	v_mfma_f32_16x16x32_fp8_fp8 v[156:159], a[62:63], v[102:103], v[156:159]// 00000002ABCC: D3F3009C 0E72CD3E
	v_mfma_f32_16x16x32_fp8_fp8 v[160:163], a[32:33], v[104:105], 0// 00000002ABD4: D3F300A0 0A02D120
	v_mfma_f32_16x16x32_fp8_fp8 v[160:163], a[34:35], v[106:107], v[160:163]// 00000002ABDC: D3F300A0 0E82D522
	v_mfma_f32_16x16x32_fp8_fp8 v[160:163], a[36:37], v[108:109], v[160:163]// 00000002ABE4: D3F300A0 0E82D924
	v_mfma_f32_16x16x32_fp8_fp8 v[160:163], a[38:39], v[110:111], v[160:163]// 00000002ABEC: D3F300A0 0E82DD26
	v_mfma_f32_16x16x32_fp8_fp8 v[164:167], a[40:41], v[104:105], 0// 00000002ABF4: D3F300A4 0A02D128
	v_mfma_f32_16x16x32_fp8_fp8 v[164:167], a[42:43], v[106:107], v[164:167]// 00000002ABFC: D3F300A4 0E92D52A
	v_mfma_f32_16x16x32_fp8_fp8 v[164:167], a[44:45], v[108:109], v[164:167]// 00000002AC04: D3F300A4 0E92D92C
	v_mfma_f32_16x16x32_fp8_fp8 v[164:167], a[46:47], v[110:111], v[164:167]// 00000002AC0C: D3F300A4 0E92DD2E
	v_mfma_f32_16x16x32_fp8_fp8 v[168:171], a[48:49], v[104:105], 0// 00000002AC14: D3F300A8 0A02D130
	v_mfma_f32_16x16x32_fp8_fp8 v[168:171], a[50:51], v[106:107], v[168:171]// 00000002AC1C: D3F300A8 0EA2D532
	v_mfma_f32_16x16x32_fp8_fp8 v[168:171], a[52:53], v[108:109], v[168:171]// 00000002AC24: D3F300A8 0EA2D934
	v_mfma_f32_16x16x32_fp8_fp8 v[168:171], a[54:55], v[110:111], v[168:171]// 00000002AC2C: D3F300A8 0EA2DD36
	v_mfma_f32_16x16x32_fp8_fp8 v[172:175], a[56:57], v[104:105], 0// 00000002AC34: D3F300AC 0A02D138
	v_mfma_f32_16x16x32_fp8_fp8 v[172:175], a[58:59], v[106:107], v[172:175]// 00000002AC3C: D3F300AC 0EB2D53A
	v_mfma_f32_16x16x32_fp8_fp8 v[172:175], a[60:61], v[108:109], v[172:175]// 00000002AC44: D3F300AC 0EB2D93C
	v_mfma_f32_16x16x32_fp8_fp8 v[172:175], a[62:63], v[110:111], v[172:175]// 00000002AC4C: D3F300AC 0EB2DD3E
	v_mov_b32_dpp v64, v43 row_shr:4 row_mask:0xf bank_mask:0xf// 00000002AC54: 7E8002FA FF01142B
	v_mov_b32_dpp v65, v43 row_shl:4 row_mask:0xf bank_mask:0xf// 00000002AC5C: 7E8202FA FF01042B
	v_cndmask_b32_e64 v248, v43, v64, s[44:45]                 // 00000002AC64: D10000F8 00B2812B
	v_cndmask_b32_e64 v249, v65, v43, s[44:45]                 // 00000002AC6C: D10000F9 00B25741
	v_mov_b32_dpp v64, v248 row_shr:8 row_mask:0xf bank_mask:0xf// 00000002AC74: 7E8002FA FF0118F8
	v_mov_b32_dpp v65, v248 row_shl:8 row_mask:0xf bank_mask:0xf// 00000002AC7C: 7E8202FA FF0108F8
	v_mov_b32_dpp v66, v249 row_shr:8 row_mask:0xf bank_mask:0xf// 00000002AC84: 7E8402FA FF0118F9
	v_mov_b32_dpp v67, v249 row_shl:8 row_mask:0xf bank_mask:0xf// 00000002AC8C: 7E8602FA FF0108F9
	v_mov_b32_e32 v68, v248                                    // 00000002AC94: 7E8803F8
	v_mov_b32_e32 v69, v249                                    // 00000002AC98: 7E8A03F9
	v_cndmask_b32_e64 v248, v68, v64, s[42:43]                 // 00000002AC9C: D10000F8 00AA8144
	v_cndmask_b32_e64 v250, v68, v65, s[78:79]                 // 00000002ACA4: D10000FA 013A8344
	v_cndmask_b32_e64 v249, v69, v66, s[42:43]                 // 00000002ACAC: D10000F9 00AA8545
	v_cndmask_b32_e64 v251, v69, v67, s[78:79]                 // 00000002ACB4: D10000FB 013A8745
	v_mov_b32_dpp v64, v58 row_shr:4 row_mask:0xf bank_mask:0xf// 00000002ACBC: 7E8002FA FF01143A
	v_mov_b32_dpp v65, v58 row_shl:4 row_mask:0xf bank_mask:0xf// 00000002ACC4: 7E8202FA FF01043A
	v_cndmask_b32_e64 v252, v58, v64, s[44:45]                 // 00000002ACCC: D10000FC 00B2813A
	v_cndmask_b32_e64 v253, v65, v58, s[44:45]                 // 00000002ACD4: D10000FD 00B27541
	v_mov_b32_dpp v64, v252 row_shr:8 row_mask:0xf bank_mask:0xf// 00000002ACDC: 7E8002FA FF0118FC
	v_mov_b32_dpp v65, v252 row_shl:8 row_mask:0xf bank_mask:0xf// 00000002ACE4: 7E8202FA FF0108FC
	v_mov_b32_dpp v66, v253 row_shr:8 row_mask:0xf bank_mask:0xf// 00000002ACEC: 7E8402FA FF0118FD
	v_mov_b32_dpp v67, v253 row_shl:8 row_mask:0xf bank_mask:0xf// 00000002ACF4: 7E8602FA FF0108FD
	v_mov_b32_e32 v68, v252                                    // 00000002ACFC: 7E8803FC
	v_mov_b32_e32 v69, v253                                    // 00000002AD00: 7E8A03FD
	v_cndmask_b32_e64 v252, v68, v64, s[42:43]                 // 00000002AD04: D10000FC 00AA8144
	v_cndmask_b32_e64 v254, v68, v65, s[78:79]                 // 00000002AD0C: D10000FE 013A8344
	v_cndmask_b32_e64 v253, v69, v66, s[42:43]                 // 00000002AD14: D10000FD 00AA8545
	v_cndmask_b32_e64 v255, v69, v67, s[78:79]                 // 00000002AD1C: D10000FF 013A8745
	v_mul_f32_e32 v112, v18, v112                              // 00000002AD24: 0AE0E112
	v_mul_f32_e32 v113, v18, v113                              // 00000002AD28: 0AE2E312
	v_mul_f32_e32 v114, v18, v114                              // 00000002AD2C: 0AE4E512
	v_mul_f32_e32 v115, v18, v115                              // 00000002AD30: 0AE6E712
	v_mul_f32_e32 v116, v18, v116                              // 00000002AD34: 0AE8E912
	v_mul_f32_e32 v117, v18, v117                              // 00000002AD38: 0AEAEB12
	v_mul_f32_e32 v118, v18, v118                              // 00000002AD3C: 0AECED12
	v_mul_f32_e32 v119, v18, v119                              // 00000002AD40: 0AEEEF12
	v_mul_f32_e32 v120, v18, v120                              // 00000002AD44: 0AF0F112
	v_mul_f32_e32 v121, v18, v121                              // 00000002AD48: 0AF2F312
	v_mul_f32_e32 v122, v18, v122                              // 00000002AD4C: 0AF4F512
	v_mul_f32_e32 v123, v18, v123                              // 00000002AD50: 0AF6F712
	v_mul_f32_e32 v124, v18, v124                              // 00000002AD54: 0AF8F912
	v_mul_f32_e32 v125, v18, v125                              // 00000002AD58: 0AFAFB12
	v_mul_f32_e32 v126, v18, v126                              // 00000002AD5C: 0AFCFD12
	v_mul_f32_e32 v127, v18, v127                              // 00000002AD60: 0AFEFF12
	v_mul_f32_dpp v112, v248, v112 quad_perm:[0,0,0,0] row_mask:0xf bank_mask:0xf// 00000002AD64: 0AE0E0FA FF0000F8
	v_mul_f32_dpp v113, v248, v113 quad_perm:[1,1,1,1] row_mask:0xf bank_mask:0xf// 00000002AD6C: 0AE2E2FA FF0055F8
	v_mul_f32_dpp v114, v248, v114 quad_perm:[2,2,2,2] row_mask:0xf bank_mask:0xf// 00000002AD74: 0AE4E4FA FF00AAF8
	v_mul_f32_dpp v115, v248, v115 quad_perm:[3,3,3,3] row_mask:0xf bank_mask:0xf// 00000002AD7C: 0AE6E6FA FF00FFF8
	v_mul_f32_dpp v116, v249, v116 quad_perm:[0,0,0,0] row_mask:0xf bank_mask:0xf// 00000002AD84: 0AE8E8FA FF0000F9
	v_mul_f32_dpp v117, v249, v117 quad_perm:[1,1,1,1] row_mask:0xf bank_mask:0xf// 00000002AD8C: 0AEAEAFA FF0055F9
	v_mul_f32_dpp v118, v249, v118 quad_perm:[2,2,2,2] row_mask:0xf bank_mask:0xf// 00000002AD94: 0AECECFA FF00AAF9
	v_mul_f32_dpp v119, v249, v119 quad_perm:[3,3,3,3] row_mask:0xf bank_mask:0xf// 00000002AD9C: 0AEEEEFA FF00FFF9
	v_mul_f32_dpp v120, v250, v120 quad_perm:[0,0,0,0] row_mask:0xf bank_mask:0xf// 00000002ADA4: 0AF0F0FA FF0000FA
	v_mul_f32_dpp v121, v250, v121 quad_perm:[1,1,1,1] row_mask:0xf bank_mask:0xf// 00000002ADAC: 0AF2F2FA FF0055FA
	v_mul_f32_dpp v122, v250, v122 quad_perm:[2,2,2,2] row_mask:0xf bank_mask:0xf// 00000002ADB4: 0AF4F4FA FF00AAFA
	v_mul_f32_dpp v123, v250, v123 quad_perm:[3,3,3,3] row_mask:0xf bank_mask:0xf// 00000002ADBC: 0AF6F6FA FF00FFFA
	v_mul_f32_dpp v124, v251, v124 quad_perm:[0,0,0,0] row_mask:0xf bank_mask:0xf// 00000002ADC4: 0AF8F8FA FF0000FB
	v_mul_f32_dpp v125, v251, v125 quad_perm:[1,1,1,1] row_mask:0xf bank_mask:0xf// 00000002ADCC: 0AFAFAFA FF0055FB
	v_mul_f32_dpp v126, v251, v126 quad_perm:[2,2,2,2] row_mask:0xf bank_mask:0xf// 00000002ADD4: 0AFCFCFA FF00AAFB
	v_mul_f32_dpp v127, v251, v127 quad_perm:[3,3,3,3] row_mask:0xf bank_mask:0xf// 00000002ADDC: 0AFEFEFA FF00FFFB
	s_cmp_le_i32 s90, s89                                      // 00000002ADE4: BF05595A
	s_cbranch_scc1 label_A36C                                  // 00000002ADE8: BF850071
	v_mov_b32_e32 v66, 0xff800000                              // 00000002ADEC: 7E8402FF FF800000
	s_mov_b32 s60, s90                                         // 00000002ADF4: BEBC005A
	s_add_u32 s61, s89, 0xff                                   // 00000002ADF8: 803DFF59 000000FF
	v_mov_b32_e32 v64, s61                                     // 00000002AE00: 7E80023D
	v_lshrrev_b32_e32 v240, 4, v0                              // 00000002AE04: 21E00084
	v_mul_i32_i24_e32 v240, 4, v240                            // 00000002AE08: 0DE1E084
	v_add_u32_e32 v240, s60, v240                              // 00000002AE0C: 69E1E03C
	s_mov_b32 s61, 0                                           // 00000002AE10: BEBD0080
	s_mul_i32 s60, 16, s7                                      // 00000002AE14: 923C0790
	v_sub_u32_e64 v240, v240, s61                              // 00000002AE18: D13500F0 00007BF0
	v_add_u32_e32 v240, s60, v240                              // 00000002AE20: 69E1E03C
	v_add_u32_e32 v241, 1, v240                                // 00000002AE24: 69E3E081
	v_add_u32_e32 v242, 2, v240                                // 00000002AE28: 69E5E082
	v_add_u32_e32 v243, 3, v240                                // 00000002AE2C: 69E7E083
	v_cmp_le_u32_e64 s[40:41], v240, v64                       // 00000002AE30: D0CB0028 000281F0
	v_add_u32_e32 v240, 64, v240                               // 00000002AE38: 69E1E0C0
	s_nop 0                                                    // 00000002AE3C: BF800000
	v_cndmask_b32_e64 v112, v66, v112, s[40:41]                // 00000002AE40: D1000070 00A2E142
	v_cmp_le_u32_e64 s[40:41], v241, v64                       // 00000002AE48: D0CB0028 000281F1
	v_add_u32_e32 v241, 64, v241                               // 00000002AE50: 69E3E2C0
	s_nop 0                                                    // 00000002AE54: BF800000
	v_cndmask_b32_e64 v113, v66, v113, s[40:41]                // 00000002AE58: D1000071 00A2E342
	v_cmp_le_u32_e64 s[40:41], v242, v64                       // 00000002AE60: D0CB0028 000281F2
	v_add_u32_e32 v242, 64, v242                               // 00000002AE68: 69E5E4C0
	s_nop 0                                                    // 00000002AE6C: BF800000
	v_cndmask_b32_e64 v114, v66, v114, s[40:41]                // 00000002AE70: D1000072 00A2E542
	v_cmp_le_u32_e64 s[40:41], v243, v64                       // 00000002AE78: D0CB0028 000281F3
	v_add_u32_e32 v243, 64, v243                               // 00000002AE80: 69E7E6C0
	s_nop 0                                                    // 00000002AE84: BF800000
	v_cndmask_b32_e64 v115, v66, v115, s[40:41]                // 00000002AE88: D1000073 00A2E742
	v_cmp_le_u32_e64 s[40:41], v240, v64                       // 00000002AE90: D0CB0028 000281F0
	v_add_u32_e32 v240, 64, v240                               // 00000002AE98: 69E1E0C0
	s_nop 0                                                    // 00000002AE9C: BF800000
	v_cndmask_b32_e64 v116, v66, v116, s[40:41]                // 00000002AEA0: D1000074 00A2E942
	v_cmp_le_u32_e64 s[40:41], v241, v64                       // 00000002AEA8: D0CB0028 000281F1
	v_add_u32_e32 v241, 64, v241                               // 00000002AEB0: 69E3E2C0
	s_nop 0                                                    // 00000002AEB4: BF800000
	v_cndmask_b32_e64 v117, v66, v117, s[40:41]                // 00000002AEB8: D1000075 00A2EB42
	v_cmp_le_u32_e64 s[40:41], v242, v64                       // 00000002AEC0: D0CB0028 000281F2
	v_add_u32_e32 v242, 64, v242                               // 00000002AEC8: 69E5E4C0
	s_nop 0                                                    // 00000002AECC: BF800000
	v_cndmask_b32_e64 v118, v66, v118, s[40:41]                // 00000002AED0: D1000076 00A2ED42
	v_cmp_le_u32_e64 s[40:41], v243, v64                       // 00000002AED8: D0CB0028 000281F3
	v_add_u32_e32 v243, 64, v243                               // 00000002AEE0: 69E7E6C0
	s_nop 0                                                    // 00000002AEE4: BF800000
	v_cndmask_b32_e64 v119, v66, v119, s[40:41]                // 00000002AEE8: D1000077 00A2EF42
	v_cmp_le_u32_e64 s[40:41], v240, v64                       // 00000002AEF0: D0CB0028 000281F0
	v_add_u32_e32 v240, 64, v240                               // 00000002AEF8: 69E1E0C0
	s_nop 0                                                    // 00000002AEFC: BF800000
	v_cndmask_b32_e64 v120, v66, v120, s[40:41]                // 00000002AF00: D1000078 00A2F142
	v_cmp_le_u32_e64 s[40:41], v241, v64                       // 00000002AF08: D0CB0028 000281F1
	v_add_u32_e32 v241, 64, v241                               // 00000002AF10: 69E3E2C0
	s_nop 0                                                    // 00000002AF14: BF800000
	v_cndmask_b32_e64 v121, v66, v121, s[40:41]                // 00000002AF18: D1000079 00A2F342
	v_cmp_le_u32_e64 s[40:41], v242, v64                       // 00000002AF20: D0CB0028 000281F2
	v_add_u32_e32 v242, 64, v242                               // 00000002AF28: 69E5E4C0
	s_nop 0                                                    // 00000002AF2C: BF800000
	v_cndmask_b32_e64 v122, v66, v122, s[40:41]                // 00000002AF30: D100007A 00A2F542
	v_cmp_le_u32_e64 s[40:41], v243, v64                       // 00000002AF38: D0CB0028 000281F3
	v_add_u32_e32 v243, 64, v243                               // 00000002AF40: 69E7E6C0
	s_nop 0                                                    // 00000002AF44: BF800000
	v_cndmask_b32_e64 v123, v66, v123, s[40:41]                // 00000002AF48: D100007B 00A2F742
	v_cmp_le_u32_e64 s[40:41], v240, v64                       // 00000002AF50: D0CB0028 000281F0
	v_add_u32_e32 v240, 64, v240                               // 00000002AF58: 69E1E0C0
	s_nop 0                                                    // 00000002AF5C: BF800000
	v_cndmask_b32_e64 v124, v66, v124, s[40:41]                // 00000002AF60: D100007C 00A2F942
	v_cmp_le_u32_e64 s[40:41], v241, v64                       // 00000002AF68: D0CB0028 000281F1
	v_add_u32_e32 v241, 64, v241                               // 00000002AF70: 69E3E2C0
	s_nop 0                                                    // 00000002AF74: BF800000
	v_cndmask_b32_e64 v125, v66, v125, s[40:41]                // 00000002AF78: D100007D 00A2FB42
	v_cmp_le_u32_e64 s[40:41], v242, v64                       // 00000002AF80: D0CB0028 000281F2
	v_add_u32_e32 v242, 64, v242                               // 00000002AF88: 69E5E4C0
	s_nop 0                                                    // 00000002AF8C: BF800000
	v_cndmask_b32_e64 v126, v66, v126, s[40:41]                // 00000002AF90: D100007E 00A2FD42
	v_cmp_le_u32_e64 s[40:41], v243, v64                       // 00000002AF98: D0CB0028 000281F3
	v_add_u32_e32 v243, 64, v243                               // 00000002AFA0: 69E7E6C0
	s_nop 0                                                    // 00000002AFA4: BF800000
	v_cndmask_b32_e64 v127, v66, v127, s[40:41]                // 00000002AFA8: D100007F 00A2FF42

000000000002afb0 <label_A36C>:
	s_and_b32 s60, s72, 0xff                                   // 00000002AFB0: 863CFF48 000000FF
	v_mov_b32_e32 v65, s60                                     // 00000002AFB8: 7E82023C
	v_lshrrev_b32_e32 v240, 4, v0                              // 00000002AFBC: 21E00084
	v_mul_i32_i24_e32 v240, 4, v240                            // 00000002AFC0: 0DE1E084
	s_mul_i32 s60, s7, 16                                      // 00000002AFC4: 923C9007
	v_add_u32_e32 v240, s60, v240                              // 00000002AFC8: 69E1E03C
	v_add_u32_e32 v241, 1, v240                                // 00000002AFCC: 69E3E081
	v_add_u32_e32 v242, 2, v240                                // 00000002AFD0: 69E5E082
	v_add_u32_e32 v243, 3, v240                                // 00000002AFD4: 69E7E083
	v_mov_b32_e32 v64, 0xff800000                              // 00000002AFD8: 7E8002FF FF800000
	v_cmp_lt_u32_e64 s[40:41], v240, v65                       // 00000002AFE0: D0C90028 000283F0
	v_add_u32_e32 v240, 64, v240                               // 00000002AFE8: 69E1E0C0
	s_nop 0                                                    // 00000002AFEC: BF800000
	v_cndmask_b32_e64 v112, v64, v112, s[40:41]                // 00000002AFF0: D1000070 00A2E140
	v_cmp_lt_u32_e64 s[40:41], v241, v65                       // 00000002AFF8: D0C90028 000283F1
	v_add_u32_e32 v241, 64, v241                               // 00000002B000: 69E3E2C0
	s_nop 0                                                    // 00000002B004: BF800000
	v_cndmask_b32_e64 v113, v64, v113, s[40:41]                // 00000002B008: D1000071 00A2E340
	v_cmp_lt_u32_e64 s[40:41], v242, v65                       // 00000002B010: D0C90028 000283F2
	v_add_u32_e32 v242, 64, v242                               // 00000002B018: 69E5E4C0
	s_nop 0                                                    // 00000002B01C: BF800000
	v_cndmask_b32_e64 v114, v64, v114, s[40:41]                // 00000002B020: D1000072 00A2E540
	v_cmp_lt_u32_e64 s[40:41], v243, v65                       // 00000002B028: D0C90028 000283F3
	v_add_u32_e32 v243, 64, v243                               // 00000002B030: 69E7E6C0
	s_nop 0                                                    // 00000002B034: BF800000
	v_cndmask_b32_e64 v115, v64, v115, s[40:41]                // 00000002B038: D1000073 00A2E740
	v_cmp_lt_u32_e64 s[40:41], v240, v65                       // 00000002B040: D0C90028 000283F0
	v_add_u32_e32 v240, 64, v240                               // 00000002B048: 69E1E0C0
	s_nop 0                                                    // 00000002B04C: BF800000
	v_cndmask_b32_e64 v116, v64, v116, s[40:41]                // 00000002B050: D1000074 00A2E940
	v_cmp_lt_u32_e64 s[40:41], v241, v65                       // 00000002B058: D0C90028 000283F1
	v_add_u32_e32 v241, 64, v241                               // 00000002B060: 69E3E2C0
	s_nop 0                                                    // 00000002B064: BF800000
	v_cndmask_b32_e64 v117, v64, v117, s[40:41]                // 00000002B068: D1000075 00A2EB40
	v_cmp_lt_u32_e64 s[40:41], v242, v65                       // 00000002B070: D0C90028 000283F2
	v_add_u32_e32 v242, 64, v242                               // 00000002B078: 69E5E4C0
	s_nop 0                                                    // 00000002B07C: BF800000
	v_cndmask_b32_e64 v118, v64, v118, s[40:41]                // 00000002B080: D1000076 00A2ED40
	v_cmp_lt_u32_e64 s[40:41], v243, v65                       // 00000002B088: D0C90028 000283F3
	v_add_u32_e32 v243, 64, v243                               // 00000002B090: 69E7E6C0
	s_nop 0                                                    // 00000002B094: BF800000
	v_cndmask_b32_e64 v119, v64, v119, s[40:41]                // 00000002B098: D1000077 00A2EF40
	v_cmp_lt_u32_e64 s[40:41], v240, v65                       // 00000002B0A0: D0C90028 000283F0
	v_add_u32_e32 v240, 64, v240                               // 00000002B0A8: 69E1E0C0
	s_nop 0                                                    // 00000002B0AC: BF800000
	v_cndmask_b32_e64 v120, v64, v120, s[40:41]                // 00000002B0B0: D1000078 00A2F140
	v_cmp_lt_u32_e64 s[40:41], v241, v65                       // 00000002B0B8: D0C90028 000283F1
	v_add_u32_e32 v241, 64, v241                               // 00000002B0C0: 69E3E2C0
	s_nop 0                                                    // 00000002B0C4: BF800000
	v_cndmask_b32_e64 v121, v64, v121, s[40:41]                // 00000002B0C8: D1000079 00A2F340
	v_cmp_lt_u32_e64 s[40:41], v242, v65                       // 00000002B0D0: D0C90028 000283F2
	v_add_u32_e32 v242, 64, v242                               // 00000002B0D8: 69E5E4C0
	s_nop 0                                                    // 00000002B0DC: BF800000
	v_cndmask_b32_e64 v122, v64, v122, s[40:41]                // 00000002B0E0: D100007A 00A2F540
	v_cmp_lt_u32_e64 s[40:41], v243, v65                       // 00000002B0E8: D0C90028 000283F3
	v_add_u32_e32 v243, 64, v243                               // 00000002B0F0: 69E7E6C0
	s_nop 0                                                    // 00000002B0F4: BF800000
	v_cndmask_b32_e64 v123, v64, v123, s[40:41]                // 00000002B0F8: D100007B 00A2F740
	v_cmp_lt_u32_e64 s[40:41], v240, v65                       // 00000002B100: D0C90028 000283F0
	v_add_u32_e32 v240, 64, v240                               // 00000002B108: 69E1E0C0
	s_nop 0                                                    // 00000002B10C: BF800000
	v_cndmask_b32_e64 v124, v64, v124, s[40:41]                // 00000002B110: D100007C 00A2F940
	v_cmp_lt_u32_e64 s[40:41], v241, v65                       // 00000002B118: D0C90028 000283F1
	v_add_u32_e32 v241, 64, v241                               // 00000002B120: 69E3E2C0
	s_nop 0                                                    // 00000002B124: BF800000
	v_cndmask_b32_e64 v125, v64, v125, s[40:41]                // 00000002B128: D100007D 00A2FB40
	v_cmp_lt_u32_e64 s[40:41], v242, v65                       // 00000002B130: D0C90028 000283F2
	v_add_u32_e32 v242, 64, v242                               // 00000002B138: 69E5E4C0
	s_nop 0                                                    // 00000002B13C: BF800000
	v_cndmask_b32_e64 v126, v64, v126, s[40:41]                // 00000002B140: D100007E 00A2FD40
	v_cmp_lt_u32_e64 s[40:41], v243, v65                       // 00000002B148: D0C90028 000283F3
	v_add_u32_e32 v243, 64, v243                               // 00000002B150: 69E7E6C0
	s_nop 0                                                    // 00000002B154: BF800000
	v_cndmask_b32_e64 v127, v64, v127, s[40:41]                // 00000002B158: D100007F 00A2FF40
	v_mov_b32_e32 v48, v112                                    // 00000002B160: 7E600370
	v_max3_f32 v48, v112, v113, v48                            // 00000002B164: D1D30030 04C2E370
	v_max3_f32 v48, v114, v115, v48                            // 00000002B16C: D1D30030 04C2E772
	v_max3_f32 v48, v116, v117, v48                            // 00000002B174: D1D30030 04C2EB74
	v_max3_f32 v48, v118, v119, v48                            // 00000002B17C: D1D30030 04C2EF76
	v_max3_f32 v48, v120, v121, v48                            // 00000002B184: D1D30030 04C2F378
	v_max3_f32 v48, v122, v123, v48                            // 00000002B18C: D1D30030 04C2F77A
	v_max3_f32 v48, v124, v125, v48                            // 00000002B194: D1D30030 04C2FB7C
	v_max3_f32 v48, v126, v127, v48                            // 00000002B19C: D1D30030 04C2FF7E
	ds_write_b32 v8, v48 offset:16896                          // 00000002B1A4: D81A4200 00003008
	v_mul_u32_u24_dpp v64, v16, v54 row_newbcast:1 row_mask:0xf bank_mask:0xf// 00000002B1AC: 10806CFA FF015110
	v_mul_u32_u24_dpp v65, v16, v54 row_newbcast:5 row_mask:0xf bank_mask:0xf// 00000002B1B4: 10826CFA FF015510
	v_mul_u32_u24_dpp v66, v16, v54 row_newbcast:9 row_mask:0xf bank_mask:0xf// 00000002B1BC: 10846CFA FF015910
	v_mul_u32_u24_dpp v67, v16, v54 row_newbcast:13 row_mask:0xf bank_mask:0xf// 00000002B1C4: 10866CFA FF015D10
	v_add_u32_e32 v30, v64, v6                                 // 00000002B1CC: 683C0D40
	v_add_u32_e32 v31, v65, v6                                 // 00000002B1D0: 683E0D41
	v_add_u32_e32 v32, v66, v6                                 // 00000002B1D4: 68400D42
	v_add_u32_e32 v33, v67, v6                                 // 00000002B1D8: 68420D43
	v_mul_f32_e32 v208, v49, v208                              // 00000002B1DC: 0BA1A131
	v_mul_f32_e32 v209, v49, v209                              // 00000002B1E0: 0BA3A331
	v_mul_f32_e32 v210, v49, v210                              // 00000002B1E4: 0BA5A531
	v_mul_f32_e32 v211, v49, v211                              // 00000002B1E8: 0BA7A731
	v_mul_f32_e32 v212, v49, v212                              // 00000002B1EC: 0BA9A931
	v_mul_f32_e32 v213, v49, v213                              // 00000002B1F0: 0BABAB31
	v_mul_f32_e32 v214, v49, v214                              // 00000002B1F4: 0BADAD31
	v_mul_f32_e32 v215, v49, v215                              // 00000002B1F8: 0BAFAF31
	s_waitcnt lgkmcnt(0)                                       // 00000002B1FC: BF8CC07F
	s_barrier                                                  // 00000002B200: BF8A0000
	ds_read_b32 v64, v7 offset:16896                           // 00000002B204: D86C4200 40000007
	ds_read_b32 v65, v7 offset:16960                           // 00000002B20C: D86C4240 41000007
	ds_read_b32 v66, v7 offset:17024                           // 00000002B214: D86C4280 42000007
	ds_read_b32 v67, v7 offset:17088                           // 00000002B21C: D86C42C0 43000007
	ds_read_b32 v68, v7 offset:17152                           // 00000002B224: D86C4300 44000007
	ds_read_b32 v69, v7 offset:17216                           // 00000002B22C: D86C4340 45000007
	ds_read_b32 v70, v7 offset:17280                           // 00000002B234: D86C4380 46000007
	ds_read_b32 v71, v7 offset:17344                           // 00000002B23C: D86C43C0 47000007
	ds_read_b32 v72, v7 offset:17408                           // 00000002B244: D86C4400 48000007
	ds_read_b32 v73, v7 offset:17472                           // 00000002B24C: D86C4440 49000007
	ds_read_b32 v74, v7 offset:17536                           // 00000002B254: D86C4480 4A000007
	ds_read_b32 v75, v7 offset:17600                           // 00000002B25C: D86C44C0 4B000007
	ds_read_b32 v76, v7 offset:17664                           // 00000002B264: D86C4500 4C000007
	ds_read_b32 v77, v7 offset:17728                           // 00000002B26C: D86C4540 4D000007
	ds_read_b32 v78, v7 offset:17792                           // 00000002B274: D86C4580 4E000007
	ds_read_b32 v79, v7 offset:17856                           // 00000002B27C: D86C45C0 4F000007
	v_mul_f32_e32 v176, v44, v176                              // 00000002B284: 0B61612C
	v_mul_f32_e32 v177, v44, v177                              // 00000002B288: 0B63632C
	v_mul_f32_e32 v178, v44, v178                              // 00000002B28C: 0B65652C
	v_mul_f32_e32 v179, v44, v179                              // 00000002B290: 0B67672C
	v_mul_f32_e32 v180, v44, v180                              // 00000002B294: 0B69692C
	v_mul_f32_e32 v181, v44, v181                              // 00000002B298: 0B6B6B2C
	v_mul_f32_e32 v182, v44, v182                              // 00000002B29C: 0B6D6D2C
	v_mul_f32_e32 v183, v44, v183                              // 00000002B2A0: 0B6F6F2C
	s_waitcnt lgkmcnt(0)                                       // 00000002B2A4: BF8CC07F
	v_max3_f32 v48, v64, v65, v48                              // 00000002B2A8: D1D30030 04C28340
	v_max3_f32 v48, v66, v67, v48                              // 00000002B2B0: D1D30030 04C28742
	v_max3_f32 v48, v68, v69, v48                              // 00000002B2B8: D1D30030 04C28B44
	v_max3_f32 v48, v70, v71, v48                              // 00000002B2C0: D1D30030 04C28F46
	v_max3_f32 v48, v72, v73, v48                              // 00000002B2C8: D1D30030 04C29348
	v_max3_f32 v48, v74, v75, v48                              // 00000002B2D0: D1D30030 04C2974A
	v_max3_f32 v48, v76, v77, v48                              // 00000002B2D8: D1D30030 04C29B4C
	v_max3_f32 v48, v78, v79, v48                              // 00000002B2E0: D1D30030 04C29F4E
	v_mov_b32_e32 v64, 0xff800000                              // 00000002B2E8: 7E8002FF FF800000
	v_cmp_eq_u32_e64 s[40:41], v64, v11                        // 00000002B2F0: D0CA0028 00021740
	s_nop 1                                                    // 00000002B2F8: BF800001
	v_max_f32_e32 v15, v48, v11                                // 00000002B2FC: 161E1730
	v_mul_f32_e32 v53, s64, v15                                // 00000002B300: 0A6A1E40
	v_fma_f32 v112, v112, s64, -v53                            // 00000002B304: D1CB0070 84D48170
	v_fma_f32 v113, v113, s64, -v53                            // 00000002B30C: D1CB0071 84D48171
	v_fma_f32 v114, v114, s64, -v53                            // 00000002B314: D1CB0072 84D48172
	v_fma_f32 v115, v115, s64, -v53                            // 00000002B31C: D1CB0073 84D48173
	v_fma_f32 v116, v116, s64, -v53                            // 00000002B324: D1CB0074 84D48174
	v_fma_f32 v117, v117, s64, -v53                            // 00000002B32C: D1CB0075 84D48175
	v_fma_f32 v118, v118, s64, -v53                            // 00000002B334: D1CB0076 84D48176
	v_fma_f32 v119, v119, s64, -v53                            // 00000002B33C: D1CB0077 84D48177
	v_fma_f32 v120, v120, s64, -v53                            // 00000002B344: D1CB0078 84D48178
	v_fma_f32 v121, v121, s64, -v53                            // 00000002B34C: D1CB0079 84D48179
	v_fma_f32 v122, v122, s64, -v53                            // 00000002B354: D1CB007A 84D4817A
	v_fma_f32 v123, v123, s64, -v53                            // 00000002B35C: D1CB007B 84D4817B
	v_fma_f32 v124, v124, s64, -v53                            // 00000002B364: D1CB007C 84D4817C
	v_fma_f32 v125, v125, s64, -v53                            // 00000002B36C: D1CB007D 84D4817D
	v_fma_f32 v126, v126, s64, -v53                            // 00000002B374: D1CB007E 84D4817E
	v_fma_f32 v127, v127, s64, -v53                            // 00000002B37C: D1CB007F 84D4817F
	v_exp_f32_e32 v112, v112                                   // 00000002B384: 7EE04170
	v_exp_f32_e32 v113, v113                                   // 00000002B388: 7EE24171
	v_exp_f32_e32 v114, v114                                   // 00000002B38C: 7EE44172
	v_exp_f32_e32 v115, v115                                   // 00000002B390: 7EE64173
	v_exp_f32_e32 v116, v116                                   // 00000002B394: 7EE84174
	v_exp_f32_e32 v117, v117                                   // 00000002B398: 7EEA4175
	v_exp_f32_e32 v118, v118                                   // 00000002B39C: 7EEC4176
	v_exp_f32_e32 v119, v119                                   // 00000002B3A0: 7EEE4177
	v_exp_f32_e32 v120, v120                                   // 00000002B3A4: 7EF04178
	v_exp_f32_e32 v121, v121                                   // 00000002B3A8: 7EF24179
	v_exp_f32_e32 v122, v122                                   // 00000002B3AC: 7EF4417A
	v_exp_f32_e32 v123, v123                                   // 00000002B3B0: 7EF6417B
	v_exp_f32_e32 v124, v124                                   // 00000002B3B4: 7EF8417C
	v_exp_f32_e32 v125, v125                                   // 00000002B3B8: 7EFA417D
	v_exp_f32_e32 v126, v126                                   // 00000002B3BC: 7EFC417E
	v_exp_f32_e32 v127, v127                                   // 00000002B3C0: 7EFE417F
	v_mul_f32_dpp v240, v252, v112 quad_perm:[0,0,0,0] row_mask:0xf bank_mask:0xf// 00000002B3C4: 0BE0E0FA FF0000FC
	v_mul_f32_dpp v241, v252, v113 quad_perm:[1,1,1,1] row_mask:0xf bank_mask:0xf// 00000002B3CC: 0BE2E2FA FF0055FC
	v_mul_f32_dpp v242, v252, v114 quad_perm:[2,2,2,2] row_mask:0xf bank_mask:0xf// 00000002B3D4: 0BE4E4FA FF00AAFC
	v_mul_f32_dpp v243, v252, v115 quad_perm:[3,3,3,3] row_mask:0xf bank_mask:0xf// 00000002B3DC: 0BE6E6FA FF00FFFC
	v_mul_f32_dpp v244, v253, v116 quad_perm:[0,0,0,0] row_mask:0xf bank_mask:0xf// 00000002B3E4: 0BE8E8FA FF0000FD
	v_mul_f32_dpp v245, v253, v117 quad_perm:[1,1,1,1] row_mask:0xf bank_mask:0xf// 00000002B3EC: 0BEAEAFA FF0055FD
	v_mul_f32_dpp v246, v253, v118 quad_perm:[2,2,2,2] row_mask:0xf bank_mask:0xf// 00000002B3F4: 0BECECFA FF00AAFD
	v_mul_f32_dpp v247, v253, v119 quad_perm:[3,3,3,3] row_mask:0xf bank_mask:0xf// 00000002B3FC: 0BEEEEFA FF00FFFD
	v_mul_f32_dpp v248, v254, v120 quad_perm:[0,0,0,0] row_mask:0xf bank_mask:0xf// 00000002B404: 0BF0F0FA FF0000FE
	v_mul_f32_dpp v249, v254, v121 quad_perm:[1,1,1,1] row_mask:0xf bank_mask:0xf// 00000002B40C: 0BF2F2FA FF0055FE
	v_mul_f32_dpp v250, v254, v122 quad_perm:[2,2,2,2] row_mask:0xf bank_mask:0xf// 00000002B414: 0BF4F4FA FF00AAFE
	v_mul_f32_dpp v251, v254, v123 quad_perm:[3,3,3,3] row_mask:0xf bank_mask:0xf// 00000002B41C: 0BF6F6FA FF00FFFE
	v_mul_f32_dpp v252, v255, v124 quad_perm:[0,0,0,0] row_mask:0xf bank_mask:0xf// 00000002B424: 0BF8F8FA FF0000FF
	v_mul_f32_dpp v253, v255, v125 quad_perm:[1,1,1,1] row_mask:0xf bank_mask:0xf// 00000002B42C: 0BFAFAFA FF0055FF
	v_mul_f32_dpp v254, v255, v126 quad_perm:[2,2,2,2] row_mask:0xf bank_mask:0xf// 00000002B434: 0BFCFCFA FF00AAFF
	v_mul_f32_dpp v255, v255, v127 quad_perm:[3,3,3,3] row_mask:0xf bank_mask:0xf// 00000002B43C: 0BFEFEFA FF00FFFF
	v_mov_b32_e32 v48, 0x358637bd                              // 00000002B444: 7E6002FF 358637BD
	v_max3_f32 v48, |v240|, |v241|, v48                        // 00000002B44C: D1D30330 04C3E3F0
	v_max3_f32 v48, |v242|, |v243|, v48                        // 00000002B454: D1D30330 04C3E7F2
	v_max3_f32 v48, |v244|, |v245|, v48                        // 00000002B45C: D1D30330 04C3EBF4
	v_max3_f32 v48, |v246|, |v247|, v48                        // 00000002B464: D1D30330 04C3EFF6
	v_max3_f32 v48, |v248|, |v249|, v48                        // 00000002B46C: D1D30330 04C3F3F8
	v_max3_f32 v48, |v250|, |v251|, v48                        // 00000002B474: D1D30330 04C3F7FA
	v_max3_f32 v48, |v252|, |v253|, v48                        // 00000002B47C: D1D30330 04C3FBFC
	v_max3_f32 v48, |v254|, |v255|, v48                        // 00000002B484: D1D30330 04C3FFFE
	ds_write_b32 v8, v48 offset:20992                          // 00000002B48C: D81A5200 00003008
	v_sub_f32_e32 v49, v11, v15                                // 00000002B494: 04621F0B
	v_cndmask_b32_e64 v49, v49, 0, s[40:41]                    // 00000002B498: D1000031 00A10131
	v_mov_b32_e32 v11, v15                                     // 00000002B4A0: 7E16030F
	v_mul_f32_e32 v49, s64, v49                                // 00000002B4A4: 0A626240
	v_exp_f32_e32 v49, v49                                     // 00000002B4A8: 7E624131
	s_waitcnt lgkmcnt(0)                                       // 00000002B4AC: BF8CC07F
	s_barrier                                                  // 00000002B4B0: BF8A0000
	ds_read_b32 v64, v7 offset:20992                           // 00000002B4B4: D86C5200 40000007
	ds_read_b32 v65, v7 offset:21056                           // 00000002B4BC: D86C5240 41000007
	ds_read_b32 v66, v7 offset:21120                           // 00000002B4C4: D86C5280 42000007
	ds_read_b32 v67, v7 offset:21184                           // 00000002B4CC: D86C52C0 43000007
	ds_read_b32 v68, v7 offset:21248                           // 00000002B4D4: D86C5300 44000007
	ds_read_b32 v69, v7 offset:21312                           // 00000002B4DC: D86C5340 45000007
	ds_read_b32 v70, v7 offset:21376                           // 00000002B4E4: D86C5380 46000007
	ds_read_b32 v71, v7 offset:21440                           // 00000002B4EC: D86C53C0 47000007
	ds_read_b32 v72, v7 offset:21504                           // 00000002B4F4: D86C5400 48000007
	ds_read_b32 v73, v7 offset:21568                           // 00000002B4FC: D86C5440 49000007
	ds_read_b32 v74, v7 offset:21632                           // 00000002B504: D86C5480 4A000007
	ds_read_b32 v75, v7 offset:21696                           // 00000002B50C: D86C54C0 4B000007
	ds_read_b32 v76, v7 offset:21760                           // 00000002B514: D86C5500 4C000007
	ds_read_b32 v77, v7 offset:21824                           // 00000002B51C: D86C5540 4D000007
	ds_read_b32 v78, v7 offset:21888                           // 00000002B524: D86C5580 4E000007
	ds_read_b32 v79, v7 offset:21952                           // 00000002B52C: D86C55C0 4F000007
	v_mul_f32_e32 v38, v49, v38                                // 00000002B534: 0A4C4D31
	v_mov_b32_e32 v15, v112                                    // 00000002B538: 7E1E0370
	v_add_f32_e32 v15, v113, v15                               // 00000002B53C: 021E1F71
	v_add_f32_e32 v15, v114, v15                               // 00000002B540: 021E1F72
	v_add_f32_e32 v15, v115, v15                               // 00000002B544: 021E1F73
	v_add_f32_e32 v15, v116, v15                               // 00000002B548: 021E1F74
	v_add_f32_e32 v15, v117, v15                               // 00000002B54C: 021E1F75
	v_add_f32_e32 v15, v118, v15                               // 00000002B550: 021E1F76
	v_add_f32_e32 v15, v119, v15                               // 00000002B554: 021E1F77
	v_add_f32_e32 v15, v120, v15                               // 00000002B558: 021E1F78
	v_add_f32_e32 v15, v121, v15                               // 00000002B55C: 021E1F79
	v_add_f32_e32 v15, v122, v15                               // 00000002B560: 021E1F7A
	v_add_f32_e32 v15, v123, v15                               // 00000002B564: 021E1F7B
	v_add_f32_e32 v15, v124, v15                               // 00000002B568: 021E1F7C
	v_add_f32_e32 v15, v125, v15                               // 00000002B56C: 021E1F7D
	v_add_f32_e32 v15, v126, v15                               // 00000002B570: 021E1F7E
	v_add_f32_e32 v15, v127, v15                               // 00000002B574: 021E1F7F
	v_add_f32_e32 v38, v15, v38                                // 00000002B578: 024C4D0F
	s_waitcnt lgkmcnt(0)                                       // 00000002B57C: BF8CC07F
	v_max3_f32 v48, |v64|, |v65|, v48                          // 00000002B580: D1D30330 04C28340
	v_max3_f32 v48, |v66|, |v67|, v48                          // 00000002B588: D1D30330 04C28742
	v_max3_f32 v48, |v68|, |v69|, v48                          // 00000002B590: D1D30330 04C28B44
	v_max3_f32 v48, |v70|, |v71|, v48                          // 00000002B598: D1D30330 04C28F46
	v_max3_f32 v48, |v72|, |v73|, v48                          // 00000002B5A0: D1D30330 04C29348
	v_max3_f32 v48, |v74|, |v75|, v48                          // 00000002B5A8: D1D30330 04C2974A
	v_max3_f32 v48, |v76|, |v77|, v48                          // 00000002B5B0: D1D30330 04C29B4C
	v_max3_f32 v48, |v78|, |v79|, v48                          // 00000002B5B8: D1D30330 04C29F4E
	s_nop 2                                                    // 00000002B5C0: BF800002
	v_rcp_f32_e32 v48, v48                                     // 00000002B5C4: 7E604530
	s_nop 1                                                    // 00000002B5C8: BF800001
	v_mul_f32_e32 v48, 0x43700000, v48                         // 00000002B5CC: 0A6060FF 43700000
	v_mul_f32_e32 v112, v48, v240                              // 00000002B5D4: 0AE1E130
	v_mul_f32_e32 v113, v48, v241                              // 00000002B5D8: 0AE3E330
	v_mul_f32_e32 v114, v48, v242                              // 00000002B5DC: 0AE5E530
	v_mul_f32_e32 v115, v48, v243                              // 00000002B5E0: 0AE7E730
	v_mul_f32_e32 v116, v48, v244                              // 00000002B5E4: 0AE9E930
	v_mul_f32_e32 v117, v48, v245                              // 00000002B5E8: 0AEBEB30
	v_mul_f32_e32 v118, v48, v246                              // 00000002B5EC: 0AEDED30
	v_mul_f32_e32 v119, v48, v247                              // 00000002B5F0: 0AEFEF30
	v_mul_f32_e32 v120, v48, v248                              // 00000002B5F4: 0AF1F130
	v_mul_f32_e32 v121, v48, v249                              // 00000002B5F8: 0AF3F330
	v_mul_f32_e32 v122, v48, v250                              // 00000002B5FC: 0AF5F530
	v_mul_f32_e32 v123, v48, v251                              // 00000002B600: 0AF7F730
	v_mul_f32_e32 v124, v48, v252                              // 00000002B604: 0AF9F930
	v_mul_f32_e32 v125, v48, v253                              // 00000002B608: 0AFBFB30
	v_mul_f32_e32 v126, v48, v254                              // 00000002B60C: 0AFDFD30
	v_mul_f32_e32 v127, v48, v255                              // 00000002B610: 0AFFFF30
	v_cvt_pk_fp8_f32 v112, v112, v113                          // 00000002B614: D2A20070 0002E370
	v_cvt_pk_fp8_f32 v112, v114, v115 op_sel:[0,0,1]           // 00000002B61C: D2A24070 0002E772
	v_cvt_pk_fp8_f32 v113, v116, v117                          // 00000002B624: D2A20071 0002EB74
	v_cvt_pk_fp8_f32 v113, v118, v119 op_sel:[0,0,1]           // 00000002B62C: D2A24071 0002EF76
	v_cvt_pk_fp8_f32 v114, v120, v121                          // 00000002B634: D2A20072 0002F378
	v_cvt_pk_fp8_f32 v114, v122, v123 op_sel:[0,0,1]           // 00000002B63C: D2A24072 0002F77A
	v_cvt_pk_fp8_f32 v115, v124, v125                          // 00000002B644: D2A20073 0002FB7C
	v_cvt_pk_fp8_f32 v115, v126, v127 op_sel:[0,0,1]           // 00000002B64C: D2A24073 0002FF7E
	ds_write_b32 v10, v112 offset:25088                        // 00000002B654: D81A6200 0000700A
	ds_write_b32 v10, v113 offset:26112                        // 00000002B65C: D81A6600 0000710A
	ds_write_b32 v10, v114 offset:27136                        // 00000002B664: D81A6A00 0000720A
	ds_write_b32 v10, v115 offset:28160                        // 00000002B66C: D81A6E00 0000730A
	v_add_f32_e32 v208, v208, v176                             // 00000002B674: 03A161D0
	v_add_f32_e32 v209, v209, v177                             // 00000002B678: 03A363D1
	v_add_f32_e32 v210, v210, v178                             // 00000002B67C: 03A565D2
	v_add_f32_e32 v211, v211, v179                             // 00000002B680: 03A767D3
	v_add_f32_e32 v212, v212, v180                             // 00000002B684: 03A969D4
	v_add_f32_e32 v213, v213, v181                             // 00000002B688: 03AB6BD5
	v_add_f32_e32 v214, v214, v182                             // 00000002B68C: 03AD6DD6
	v_add_f32_e32 v215, v215, v183                             // 00000002B690: 03AF6FD7
	v_rcp_f32_e32 v44, v48                                     // 00000002B694: 7E584530
	s_waitcnt lgkmcnt(0)                                       // 00000002B698: BF8CC07F
	s_barrier                                                  // 00000002B69C: BF8A0000
	ds_read_b64 v[112:113], v9 offset:25088                    // 00000002B6A0: D8EC6200 70000009
	ds_read_b64 v[114:115], v9 offset:25216                    // 00000002B6A8: D8EC6280 72000009
	ds_read_b64 v[116:117], v9 offset:26112                    // 00000002B6B0: D8EC6600 74000009
	ds_read_b64 v[118:119], v9 offset:26240                    // 00000002B6B8: D8EC6680 76000009
	ds_read_b64 v[120:121], v9 offset:27136                    // 00000002B6C0: D8EC6A00 78000009
	ds_read_b64 v[122:123], v9 offset:27264                    // 00000002B6C8: D8EC6A80 7A000009
	ds_read_b64 v[124:125], v9 offset:28160                    // 00000002B6D0: D8EC6E00 7C000009
	ds_read_b64 v[126:127], v9 offset:28288                    // 00000002B6D8: D8EC6E80 7E000009
	v_mov_b32_dpp v64, v43 row_shr:4 row_mask:0xf bank_mask:0xf// 00000002B6E0: 7E8002FA FF01142B
	v_mov_b32_dpp v65, v43 row_shl:4 row_mask:0xf bank_mask:0xf// 00000002B6E8: 7E8202FA FF01042B
	v_cndmask_b32_e64 v248, v43, v64, s[44:45]                 // 00000002B6F0: D10000F8 00B2812B
	v_cndmask_b32_e64 v249, v65, v43, s[44:45]                 // 00000002B6F8: D10000F9 00B25741
	v_mov_b32_dpp v64, v248 row_shr:8 row_mask:0xf bank_mask:0xf// 00000002B700: 7E8002FA FF0118F8
	v_mov_b32_dpp v65, v248 row_shl:8 row_mask:0xf bank_mask:0xf// 00000002B708: 7E8202FA FF0108F8
	v_mov_b32_dpp v66, v249 row_shr:8 row_mask:0xf bank_mask:0xf// 00000002B710: 7E8402FA FF0118F9
	v_mov_b32_dpp v67, v249 row_shl:8 row_mask:0xf bank_mask:0xf// 00000002B718: 7E8602FA FF0108F9
	v_mov_b32_e32 v68, v248                                    // 00000002B720: 7E8803F8
	v_mov_b32_e32 v69, v249                                    // 00000002B724: 7E8A03F9
	v_cndmask_b32_e64 v248, v68, v64, s[42:43]                 // 00000002B728: D10000F8 00AA8144
	v_cndmask_b32_e64 v250, v68, v65, s[78:79]                 // 00000002B730: D10000FA 013A8344
	v_cndmask_b32_e64 v249, v69, v66, s[42:43]                 // 00000002B738: D10000F9 00AA8545
	v_cndmask_b32_e64 v251, v69, v67, s[78:79]                 // 00000002B740: D10000FB 013A8745
	v_mov_b32_dpp v64, v58 row_shr:4 row_mask:0xf bank_mask:0xf// 00000002B748: 7E8002FA FF01143A
	v_mov_b32_dpp v65, v58 row_shl:4 row_mask:0xf bank_mask:0xf// 00000002B750: 7E8202FA FF01043A
	v_cndmask_b32_e64 v252, v58, v64, s[44:45]                 // 00000002B758: D10000FC 00B2813A
	v_cndmask_b32_e64 v253, v65, v58, s[44:45]                 // 00000002B760: D10000FD 00B27541
	v_mov_b32_dpp v64, v252 row_shr:8 row_mask:0xf bank_mask:0xf// 00000002B768: 7E8002FA FF0118FC
	v_mov_b32_dpp v65, v252 row_shl:8 row_mask:0xf bank_mask:0xf// 00000002B770: 7E8202FA FF0108FC
	v_mov_b32_dpp v66, v253 row_shr:8 row_mask:0xf bank_mask:0xf// 00000002B778: 7E8402FA FF0118FD
	v_mov_b32_dpp v67, v253 row_shl:8 row_mask:0xf bank_mask:0xf// 00000002B780: 7E8602FA FF0108FD
	v_mov_b32_e32 v68, v252                                    // 00000002B788: 7E8803FC
	v_mov_b32_e32 v69, v253                                    // 00000002B78C: 7E8A03FD
	v_cndmask_b32_e64 v252, v68, v64, s[42:43]                 // 00000002B790: D10000FC 00AA8144
	v_cndmask_b32_e64 v254, v68, v65, s[78:79]                 // 00000002B798: D10000FE 013A8344
	v_cndmask_b32_e64 v253, v69, v66, s[42:43]                 // 00000002B7A0: D10000FD 00AA8545
	v_cndmask_b32_e64 v255, v69, v67, s[78:79]                 // 00000002B7A8: D10000FF 013A8745
	v_mul_f32_e32 v128, v19, v128                              // 00000002B7B0: 0B010113
	v_mul_f32_e32 v129, v19, v129                              // 00000002B7B4: 0B030313
	v_mul_f32_e32 v130, v19, v130                              // 00000002B7B8: 0B050513
	v_mul_f32_e32 v131, v19, v131                              // 00000002B7BC: 0B070713
	v_mul_f32_e32 v132, v19, v132                              // 00000002B7C0: 0B090913
	v_mul_f32_e32 v133, v19, v133                              // 00000002B7C4: 0B0B0B13
	v_mul_f32_e32 v134, v19, v134                              // 00000002B7C8: 0B0D0D13
	v_mul_f32_e32 v135, v19, v135                              // 00000002B7CC: 0B0F0F13
	v_mul_f32_e32 v136, v19, v136                              // 00000002B7D0: 0B111113
	v_mul_f32_e32 v137, v19, v137                              // 00000002B7D4: 0B131313
	v_mul_f32_e32 v138, v19, v138                              // 00000002B7D8: 0B151513
	v_mul_f32_e32 v139, v19, v139                              // 00000002B7DC: 0B171713
	v_mul_f32_e32 v140, v19, v140                              // 00000002B7E0: 0B191913
	v_mul_f32_e32 v141, v19, v141                              // 00000002B7E4: 0B1B1B13
	v_mul_f32_e32 v142, v19, v142                              // 00000002B7E8: 0B1D1D13
	v_mul_f32_e32 v143, v19, v143                              // 00000002B7EC: 0B1F1F13
	v_mul_f32_dpp v128, v248, v128 quad_perm:[0,0,0,0] row_mask:0xf bank_mask:0xf// 00000002B7F0: 0B0100FA FF0000F8
	v_mul_f32_dpp v129, v248, v129 quad_perm:[1,1,1,1] row_mask:0xf bank_mask:0xf// 00000002B7F8: 0B0302FA FF0055F8
	v_mul_f32_dpp v130, v248, v130 quad_perm:[2,2,2,2] row_mask:0xf bank_mask:0xf// 00000002B800: 0B0504FA FF00AAF8
	v_mul_f32_dpp v131, v248, v131 quad_perm:[3,3,3,3] row_mask:0xf bank_mask:0xf// 00000002B808: 0B0706FA FF00FFF8
	v_mul_f32_dpp v132, v249, v132 quad_perm:[0,0,0,0] row_mask:0xf bank_mask:0xf// 00000002B810: 0B0908FA FF0000F9
	v_mul_f32_dpp v133, v249, v133 quad_perm:[1,1,1,1] row_mask:0xf bank_mask:0xf// 00000002B818: 0B0B0AFA FF0055F9
	v_mul_f32_dpp v134, v249, v134 quad_perm:[2,2,2,2] row_mask:0xf bank_mask:0xf// 00000002B820: 0B0D0CFA FF00AAF9
	v_mul_f32_dpp v135, v249, v135 quad_perm:[3,3,3,3] row_mask:0xf bank_mask:0xf// 00000002B828: 0B0F0EFA FF00FFF9
	v_mul_f32_dpp v136, v250, v136 quad_perm:[0,0,0,0] row_mask:0xf bank_mask:0xf// 00000002B830: 0B1110FA FF0000FA
	v_mul_f32_dpp v137, v250, v137 quad_perm:[1,1,1,1] row_mask:0xf bank_mask:0xf// 00000002B838: 0B1312FA FF0055FA
	v_mul_f32_dpp v138, v250, v138 quad_perm:[2,2,2,2] row_mask:0xf bank_mask:0xf// 00000002B840: 0B1514FA FF00AAFA
	v_mul_f32_dpp v139, v250, v139 quad_perm:[3,3,3,3] row_mask:0xf bank_mask:0xf// 00000002B848: 0B1716FA FF00FFFA
	v_mul_f32_dpp v140, v251, v140 quad_perm:[0,0,0,0] row_mask:0xf bank_mask:0xf// 00000002B850: 0B1918FA FF0000FB
	v_mul_f32_dpp v141, v251, v141 quad_perm:[1,1,1,1] row_mask:0xf bank_mask:0xf// 00000002B858: 0B1B1AFA FF0055FB
	v_mul_f32_dpp v142, v251, v142 quad_perm:[2,2,2,2] row_mask:0xf bank_mask:0xf// 00000002B860: 0B1D1CFA FF00AAFB
	v_mul_f32_dpp v143, v251, v143 quad_perm:[3,3,3,3] row_mask:0xf bank_mask:0xf// 00000002B868: 0B1F1EFA FF00FFFB
	s_cmp_le_i32 s90, s89                                      // 00000002B870: BF05595A
	s_cbranch_scc1 label_A60F                                  // 00000002B874: BF850071
	v_mov_b32_e32 v66, 0xff800000                              // 00000002B878: 7E8402FF FF800000
	s_mov_b32 s60, s90                                         // 00000002B880: BEBC005A
	s_add_u32 s61, s89, 0xff                                   // 00000002B884: 803DFF59 000000FF
	v_mov_b32_e32 v64, s61                                     // 00000002B88C: 7E80023D
	v_lshrrev_b32_e32 v240, 4, v0                              // 00000002B890: 21E00084
	v_mul_i32_i24_e32 v240, 4, v240                            // 00000002B894: 0DE1E084
	v_add_u32_e32 v240, s60, v240                              // 00000002B898: 69E1E03C
	s_mov_b32 s61, 1                                           // 00000002B89C: BEBD0081
	s_mul_i32 s60, 16, s7                                      // 00000002B8A0: 923C0790
	v_sub_u32_e64 v240, v240, s61                              // 00000002B8A4: D13500F0 00007BF0
	v_add_u32_e32 v240, s60, v240                              // 00000002B8AC: 69E1E03C
	v_add_u32_e32 v241, 1, v240                                // 00000002B8B0: 69E3E081
	v_add_u32_e32 v242, 2, v240                                // 00000002B8B4: 69E5E082
	v_add_u32_e32 v243, 3, v240                                // 00000002B8B8: 69E7E083
	v_cmp_le_u32_e64 s[40:41], v240, v64                       // 00000002B8BC: D0CB0028 000281F0
	v_add_u32_e32 v240, 64, v240                               // 00000002B8C4: 69E1E0C0
	s_nop 0                                                    // 00000002B8C8: BF800000
	v_cndmask_b32_e64 v128, v66, v128, s[40:41]                // 00000002B8CC: D1000080 00A30142
	v_cmp_le_u32_e64 s[40:41], v241, v64                       // 00000002B8D4: D0CB0028 000281F1
	v_add_u32_e32 v241, 64, v241                               // 00000002B8DC: 69E3E2C0
	s_nop 0                                                    // 00000002B8E0: BF800000
	v_cndmask_b32_e64 v129, v66, v129, s[40:41]                // 00000002B8E4: D1000081 00A30342
	v_cmp_le_u32_e64 s[40:41], v242, v64                       // 00000002B8EC: D0CB0028 000281F2
	v_add_u32_e32 v242, 64, v242                               // 00000002B8F4: 69E5E4C0
	s_nop 0                                                    // 00000002B8F8: BF800000
	v_cndmask_b32_e64 v130, v66, v130, s[40:41]                // 00000002B8FC: D1000082 00A30542
	v_cmp_le_u32_e64 s[40:41], v243, v64                       // 00000002B904: D0CB0028 000281F3
	v_add_u32_e32 v243, 64, v243                               // 00000002B90C: 69E7E6C0
	s_nop 0                                                    // 00000002B910: BF800000
	v_cndmask_b32_e64 v131, v66, v131, s[40:41]                // 00000002B914: D1000083 00A30742
	v_cmp_le_u32_e64 s[40:41], v240, v64                       // 00000002B91C: D0CB0028 000281F0
	v_add_u32_e32 v240, 64, v240                               // 00000002B924: 69E1E0C0
	s_nop 0                                                    // 00000002B928: BF800000
	v_cndmask_b32_e64 v132, v66, v132, s[40:41]                // 00000002B92C: D1000084 00A30942
	v_cmp_le_u32_e64 s[40:41], v241, v64                       // 00000002B934: D0CB0028 000281F1
	v_add_u32_e32 v241, 64, v241                               // 00000002B93C: 69E3E2C0
	s_nop 0                                                    // 00000002B940: BF800000
	v_cndmask_b32_e64 v133, v66, v133, s[40:41]                // 00000002B944: D1000085 00A30B42
	v_cmp_le_u32_e64 s[40:41], v242, v64                       // 00000002B94C: D0CB0028 000281F2
	v_add_u32_e32 v242, 64, v242                               // 00000002B954: 69E5E4C0
	s_nop 0                                                    // 00000002B958: BF800000
	v_cndmask_b32_e64 v134, v66, v134, s[40:41]                // 00000002B95C: D1000086 00A30D42
	v_cmp_le_u32_e64 s[40:41], v243, v64                       // 00000002B964: D0CB0028 000281F3
	v_add_u32_e32 v243, 64, v243                               // 00000002B96C: 69E7E6C0
	s_nop 0                                                    // 00000002B970: BF800000
	v_cndmask_b32_e64 v135, v66, v135, s[40:41]                // 00000002B974: D1000087 00A30F42
	v_cmp_le_u32_e64 s[40:41], v240, v64                       // 00000002B97C: D0CB0028 000281F0
	v_add_u32_e32 v240, 64, v240                               // 00000002B984: 69E1E0C0
	s_nop 0                                                    // 00000002B988: BF800000
	v_cndmask_b32_e64 v136, v66, v136, s[40:41]                // 00000002B98C: D1000088 00A31142
	v_cmp_le_u32_e64 s[40:41], v241, v64                       // 00000002B994: D0CB0028 000281F1
	v_add_u32_e32 v241, 64, v241                               // 00000002B99C: 69E3E2C0
	s_nop 0                                                    // 00000002B9A0: BF800000
	v_cndmask_b32_e64 v137, v66, v137, s[40:41]                // 00000002B9A4: D1000089 00A31342
	v_cmp_le_u32_e64 s[40:41], v242, v64                       // 00000002B9AC: D0CB0028 000281F2
	v_add_u32_e32 v242, 64, v242                               // 00000002B9B4: 69E5E4C0
	s_nop 0                                                    // 00000002B9B8: BF800000
	v_cndmask_b32_e64 v138, v66, v138, s[40:41]                // 00000002B9BC: D100008A 00A31542
	v_cmp_le_u32_e64 s[40:41], v243, v64                       // 00000002B9C4: D0CB0028 000281F3
	v_add_u32_e32 v243, 64, v243                               // 00000002B9CC: 69E7E6C0
	s_nop 0                                                    // 00000002B9D0: BF800000
	v_cndmask_b32_e64 v139, v66, v139, s[40:41]                // 00000002B9D4: D100008B 00A31742
	v_cmp_le_u32_e64 s[40:41], v240, v64                       // 00000002B9DC: D0CB0028 000281F0
	v_add_u32_e32 v240, 64, v240                               // 00000002B9E4: 69E1E0C0
	s_nop 0                                                    // 00000002B9E8: BF800000
	v_cndmask_b32_e64 v140, v66, v140, s[40:41]                // 00000002B9EC: D100008C 00A31942
	v_cmp_le_u32_e64 s[40:41], v241, v64                       // 00000002B9F4: D0CB0028 000281F1
	v_add_u32_e32 v241, 64, v241                               // 00000002B9FC: 69E3E2C0
	s_nop 0                                                    // 00000002BA00: BF800000
	v_cndmask_b32_e64 v141, v66, v141, s[40:41]                // 00000002BA04: D100008D 00A31B42
	v_cmp_le_u32_e64 s[40:41], v242, v64                       // 00000002BA0C: D0CB0028 000281F2
	v_add_u32_e32 v242, 64, v242                               // 00000002BA14: 69E5E4C0
	s_nop 0                                                    // 00000002BA18: BF800000
	v_cndmask_b32_e64 v142, v66, v142, s[40:41]                // 00000002BA1C: D100008E 00A31D42
	v_cmp_le_u32_e64 s[40:41], v243, v64                       // 00000002BA24: D0CB0028 000281F3
	v_add_u32_e32 v243, 64, v243                               // 00000002BA2C: 69E7E6C0
	s_nop 0                                                    // 00000002BA30: BF800000
	v_cndmask_b32_e64 v143, v66, v143, s[40:41]                // 00000002BA34: D100008F 00A31F42

000000000002ba3c <label_A60F>:
	s_and_b32 s60, s72, 0xff                                   // 00000002BA3C: 863CFF48 000000FF
	v_mov_b32_e32 v65, s60                                     // 00000002BA44: 7E82023C
	v_lshrrev_b32_e32 v240, 4, v0                              // 00000002BA48: 21E00084
	v_mul_i32_i24_e32 v240, 4, v240                            // 00000002BA4C: 0DE1E084
	s_mul_i32 s60, s7, 16                                      // 00000002BA50: 923C9007
	v_add_u32_e32 v240, s60, v240                              // 00000002BA54: 69E1E03C
	v_add_u32_e32 v241, 1, v240                                // 00000002BA58: 69E3E081
	v_add_u32_e32 v242, 2, v240                                // 00000002BA5C: 69E5E082
	v_add_u32_e32 v243, 3, v240                                // 00000002BA60: 69E7E083
	v_mov_b32_e32 v64, 0xff800000                              // 00000002BA64: 7E8002FF FF800000
	v_cmp_lt_u32_e64 s[40:41], v240, v65                       // 00000002BA6C: D0C90028 000283F0
	v_add_u32_e32 v240, 64, v240                               // 00000002BA74: 69E1E0C0
	s_nop 0                                                    // 00000002BA78: BF800000
	v_cndmask_b32_e64 v128, v64, v128, s[40:41]                // 00000002BA7C: D1000080 00A30140
	v_cmp_lt_u32_e64 s[40:41], v241, v65                       // 00000002BA84: D0C90028 000283F1
	v_add_u32_e32 v241, 64, v241                               // 00000002BA8C: 69E3E2C0
	s_nop 0                                                    // 00000002BA90: BF800000
	v_cndmask_b32_e64 v129, v64, v129, s[40:41]                // 00000002BA94: D1000081 00A30340
	v_cmp_lt_u32_e64 s[40:41], v242, v65                       // 00000002BA9C: D0C90028 000283F2
	v_add_u32_e32 v242, 64, v242                               // 00000002BAA4: 69E5E4C0
	s_nop 0                                                    // 00000002BAA8: BF800000
	v_cndmask_b32_e64 v130, v64, v130, s[40:41]                // 00000002BAAC: D1000082 00A30540
	v_cmp_lt_u32_e64 s[40:41], v243, v65                       // 00000002BAB4: D0C90028 000283F3
	v_add_u32_e32 v243, 64, v243                               // 00000002BABC: 69E7E6C0
	s_nop 0                                                    // 00000002BAC0: BF800000
	v_cndmask_b32_e64 v131, v64, v131, s[40:41]                // 00000002BAC4: D1000083 00A30740
	v_cmp_lt_u32_e64 s[40:41], v240, v65                       // 00000002BACC: D0C90028 000283F0
	v_add_u32_e32 v240, 64, v240                               // 00000002BAD4: 69E1E0C0
	s_nop 0                                                    // 00000002BAD8: BF800000
	v_cndmask_b32_e64 v132, v64, v132, s[40:41]                // 00000002BADC: D1000084 00A30940
	v_cmp_lt_u32_e64 s[40:41], v241, v65                       // 00000002BAE4: D0C90028 000283F1
	v_add_u32_e32 v241, 64, v241                               // 00000002BAEC: 69E3E2C0
	s_nop 0                                                    // 00000002BAF0: BF800000
	v_cndmask_b32_e64 v133, v64, v133, s[40:41]                // 00000002BAF4: D1000085 00A30B40
	v_cmp_lt_u32_e64 s[40:41], v242, v65                       // 00000002BAFC: D0C90028 000283F2
	v_add_u32_e32 v242, 64, v242                               // 00000002BB04: 69E5E4C0
	s_nop 0                                                    // 00000002BB08: BF800000
	v_cndmask_b32_e64 v134, v64, v134, s[40:41]                // 00000002BB0C: D1000086 00A30D40
	v_cmp_lt_u32_e64 s[40:41], v243, v65                       // 00000002BB14: D0C90028 000283F3
	v_add_u32_e32 v243, 64, v243                               // 00000002BB1C: 69E7E6C0
	s_nop 0                                                    // 00000002BB20: BF800000
	v_cndmask_b32_e64 v135, v64, v135, s[40:41]                // 00000002BB24: D1000087 00A30F40
	v_cmp_lt_u32_e64 s[40:41], v240, v65                       // 00000002BB2C: D0C90028 000283F0
	v_add_u32_e32 v240, 64, v240                               // 00000002BB34: 69E1E0C0
	s_nop 0                                                    // 00000002BB38: BF800000
	v_cndmask_b32_e64 v136, v64, v136, s[40:41]                // 00000002BB3C: D1000088 00A31140
	v_cmp_lt_u32_e64 s[40:41], v241, v65                       // 00000002BB44: D0C90028 000283F1
	v_add_u32_e32 v241, 64, v241                               // 00000002BB4C: 69E3E2C0
	s_nop 0                                                    // 00000002BB50: BF800000
	v_cndmask_b32_e64 v137, v64, v137, s[40:41]                // 00000002BB54: D1000089 00A31340
	v_cmp_lt_u32_e64 s[40:41], v242, v65                       // 00000002BB5C: D0C90028 000283F2
	v_add_u32_e32 v242, 64, v242                               // 00000002BB64: 69E5E4C0
	s_nop 0                                                    // 00000002BB68: BF800000
	v_cndmask_b32_e64 v138, v64, v138, s[40:41]                // 00000002BB6C: D100008A 00A31540
	v_cmp_lt_u32_e64 s[40:41], v243, v65                       // 00000002BB74: D0C90028 000283F3
	v_add_u32_e32 v243, 64, v243                               // 00000002BB7C: 69E7E6C0
	s_nop 0                                                    // 00000002BB80: BF800000
	v_cndmask_b32_e64 v139, v64, v139, s[40:41]                // 00000002BB84: D100008B 00A31740
	v_cmp_lt_u32_e64 s[40:41], v240, v65                       // 00000002BB8C: D0C90028 000283F0
	v_add_u32_e32 v240, 64, v240                               // 00000002BB94: 69E1E0C0
	s_nop 0                                                    // 00000002BB98: BF800000
	v_cndmask_b32_e64 v140, v64, v140, s[40:41]                // 00000002BB9C: D100008C 00A31940
	v_cmp_lt_u32_e64 s[40:41], v241, v65                       // 00000002BBA4: D0C90028 000283F1
	v_add_u32_e32 v241, 64, v241                               // 00000002BBAC: 69E3E2C0
	s_nop 0                                                    // 00000002BBB0: BF800000
	v_cndmask_b32_e64 v141, v64, v141, s[40:41]                // 00000002BBB4: D100008D 00A31B40
	v_cmp_lt_u32_e64 s[40:41], v242, v65                       // 00000002BBBC: D0C90028 000283F2
	v_add_u32_e32 v242, 64, v242                               // 00000002BBC4: 69E5E4C0
	s_nop 0                                                    // 00000002BBC8: BF800000
	v_cndmask_b32_e64 v142, v64, v142, s[40:41]                // 00000002BBCC: D100008E 00A31D40
	v_cmp_lt_u32_e64 s[40:41], v243, v65                       // 00000002BBD4: D0C90028 000283F3
	v_add_u32_e32 v243, 64, v243                               // 00000002BBDC: 69E7E6C0
	s_nop 0                                                    // 00000002BBE0: BF800000
	v_cndmask_b32_e64 v143, v64, v143, s[40:41]                // 00000002BBE4: D100008F 00A31F40
	v_mov_b32_e32 v48, v128                                    // 00000002BBEC: 7E600380
	v_max3_f32 v48, v128, v129, v48                            // 00000002BBF0: D1D30030 04C30380
	v_max3_f32 v48, v130, v131, v48                            // 00000002BBF8: D1D30030 04C30782
	v_max3_f32 v48, v132, v133, v48                            // 00000002BC00: D1D30030 04C30B84
	v_max3_f32 v48, v134, v135, v48                            // 00000002BC08: D1D30030 04C30F86
	v_max3_f32 v48, v136, v137, v48                            // 00000002BC10: D1D30030 04C31388
	v_max3_f32 v48, v138, v139, v48                            // 00000002BC18: D1D30030 04C3178A
	v_max3_f32 v48, v140, v141, v48                            // 00000002BC20: D1D30030 04C31B8C
	v_max3_f32 v48, v142, v143, v48                            // 00000002BC28: D1D30030 04C31F8E
	ds_write_b32 v8, v48 offset:16896                          // 00000002BC30: D81A4200 00003008
	v_mul_f32_e32 v216, v50, v216                              // 00000002BC38: 0BB1B132
	v_mul_f32_e32 v217, v50, v217                              // 00000002BC3C: 0BB3B332
	v_mul_f32_e32 v218, v50, v218                              // 00000002BC40: 0BB5B532
	v_mul_f32_e32 v219, v50, v219                              // 00000002BC44: 0BB7B732
	v_mul_f32_e32 v220, v50, v220                              // 00000002BC48: 0BB9B932
	v_mul_f32_e32 v221, v50, v221                              // 00000002BC4C: 0BBBBB32
	v_mul_f32_e32 v222, v50, v222                              // 00000002BC50: 0BBDBD32
	v_mul_f32_e32 v223, v50, v223                              // 00000002BC54: 0BBFBF32
	s_waitcnt lgkmcnt(0)                                       // 00000002BC58: BF8CC07F
	s_barrier                                                  // 00000002BC5C: BF8A0000
	ds_read_b32 v64, v7 offset:16896                           // 00000002BC60: D86C4200 40000007
	ds_read_b32 v65, v7 offset:16960                           // 00000002BC68: D86C4240 41000007
	ds_read_b32 v66, v7 offset:17024                           // 00000002BC70: D86C4280 42000007
	ds_read_b32 v67, v7 offset:17088                           // 00000002BC78: D86C42C0 43000007
	ds_read_b32 v68, v7 offset:17152                           // 00000002BC80: D86C4300 44000007
	ds_read_b32 v69, v7 offset:17216                           // 00000002BC88: D86C4340 45000007
	ds_read_b32 v70, v7 offset:17280                           // 00000002BC90: D86C4380 46000007
	ds_read_b32 v71, v7 offset:17344                           // 00000002BC98: D86C43C0 47000007
	ds_read_b32 v72, v7 offset:17408                           // 00000002BCA0: D86C4400 48000007
	ds_read_b32 v73, v7 offset:17472                           // 00000002BCA8: D86C4440 49000007
	ds_read_b32 v74, v7 offset:17536                           // 00000002BCB0: D86C4480 4A000007
	ds_read_b32 v75, v7 offset:17600                           // 00000002BCB8: D86C44C0 4B000007
	ds_read_b32 v76, v7 offset:17664                           // 00000002BCC0: D86C4500 4C000007
	ds_read_b32 v77, v7 offset:17728                           // 00000002BCC8: D86C4540 4D000007
	ds_read_b32 v78, v7 offset:17792                           // 00000002BCD0: D86C4580 4E000007
	ds_read_b32 v79, v7 offset:17856                           // 00000002BCD8: D86C45C0 4F000007
	v_mul_f32_e32 v184, v45, v184                              // 00000002BCE0: 0B71712D
	v_mul_f32_e32 v185, v45, v185                              // 00000002BCE4: 0B73732D
	v_mul_f32_e32 v186, v45, v186                              // 00000002BCE8: 0B75752D
	v_mul_f32_e32 v187, v45, v187                              // 00000002BCEC: 0B77772D
	v_mul_f32_e32 v188, v45, v188                              // 00000002BCF0: 0B79792D
	v_mul_f32_e32 v189, v45, v189                              // 00000002BCF4: 0B7B7B2D
	v_mul_f32_e32 v190, v45, v190                              // 00000002BCF8: 0B7D7D2D
	v_mul_f32_e32 v191, v45, v191                              // 00000002BCFC: 0B7F7F2D
	s_waitcnt lgkmcnt(0)                                       // 00000002BD00: BF8CC07F
	v_max3_f32 v48, v64, v65, v48                              // 00000002BD04: D1D30030 04C28340
	v_max3_f32 v48, v66, v67, v48                              // 00000002BD0C: D1D30030 04C28742
	v_max3_f32 v48, v68, v69, v48                              // 00000002BD14: D1D30030 04C28B44
	v_max3_f32 v48, v70, v71, v48                              // 00000002BD1C: D1D30030 04C28F46
	v_max3_f32 v48, v72, v73, v48                              // 00000002BD24: D1D30030 04C29348
	v_max3_f32 v48, v74, v75, v48                              // 00000002BD2C: D1D30030 04C2974A
	v_max3_f32 v48, v76, v77, v48                              // 00000002BD34: D1D30030 04C29B4C
	v_max3_f32 v48, v78, v79, v48                              // 00000002BD3C: D1D30030 04C29F4E
	v_mov_b32_e32 v64, 0xff800000                              // 00000002BD44: 7E8002FF FF800000
	v_cmp_eq_u32_e64 s[40:41], v64, v12                        // 00000002BD4C: D0CA0028 00021940
	s_nop 1                                                    // 00000002BD54: BF800001
	v_max_f32_e32 v15, v48, v12                                // 00000002BD58: 161E1930
	v_mul_f32_e32 v53, s64, v15                                // 00000002BD5C: 0A6A1E40
	v_fma_f32 v128, v128, s64, -v53                            // 00000002BD60: D1CB0080 84D48180
	v_fma_f32 v129, v129, s64, -v53                            // 00000002BD68: D1CB0081 84D48181
	v_fma_f32 v130, v130, s64, -v53                            // 00000002BD70: D1CB0082 84D48182
	v_fma_f32 v131, v131, s64, -v53                            // 00000002BD78: D1CB0083 84D48183
	v_fma_f32 v132, v132, s64, -v53                            // 00000002BD80: D1CB0084 84D48184
	v_fma_f32 v133, v133, s64, -v53                            // 00000002BD88: D1CB0085 84D48185
	v_fma_f32 v134, v134, s64, -v53                            // 00000002BD90: D1CB0086 84D48186
	v_fma_f32 v135, v135, s64, -v53                            // 00000002BD98: D1CB0087 84D48187
	v_fma_f32 v136, v136, s64, -v53                            // 00000002BDA0: D1CB0088 84D48188
	v_fma_f32 v137, v137, s64, -v53                            // 00000002BDA8: D1CB0089 84D48189
	v_fma_f32 v138, v138, s64, -v53                            // 00000002BDB0: D1CB008A 84D4818A
	v_fma_f32 v139, v139, s64, -v53                            // 00000002BDB8: D1CB008B 84D4818B
	v_fma_f32 v140, v140, s64, -v53                            // 00000002BDC0: D1CB008C 84D4818C
	v_fma_f32 v141, v141, s64, -v53                            // 00000002BDC8: D1CB008D 84D4818D
	v_fma_f32 v142, v142, s64, -v53                            // 00000002BDD0: D1CB008E 84D4818E
	v_fma_f32 v143, v143, s64, -v53                            // 00000002BDD8: D1CB008F 84D4818F
	v_exp_f32_e32 v128, v128                                   // 00000002BDE0: 7F004180
	v_exp_f32_e32 v129, v129                                   // 00000002BDE4: 7F024181
	v_exp_f32_e32 v130, v130                                   // 00000002BDE8: 7F044182
	v_exp_f32_e32 v131, v131                                   // 00000002BDEC: 7F064183
	v_exp_f32_e32 v132, v132                                   // 00000002BDF0: 7F084184
	v_exp_f32_e32 v133, v133                                   // 00000002BDF4: 7F0A4185
	v_exp_f32_e32 v134, v134                                   // 00000002BDF8: 7F0C4186
	v_exp_f32_e32 v135, v135                                   // 00000002BDFC: 7F0E4187
	v_exp_f32_e32 v136, v136                                   // 00000002BE00: 7F104188
	v_exp_f32_e32 v137, v137                                   // 00000002BE04: 7F124189
	v_exp_f32_e32 v138, v138                                   // 00000002BE08: 7F14418A
	v_exp_f32_e32 v139, v139                                   // 00000002BE0C: 7F16418B
	v_exp_f32_e32 v140, v140                                   // 00000002BE10: 7F18418C
	v_exp_f32_e32 v141, v141                                   // 00000002BE14: 7F1A418D
	v_exp_f32_e32 v142, v142                                   // 00000002BE18: 7F1C418E
	v_exp_f32_e32 v143, v143                                   // 00000002BE1C: 7F1E418F
	v_mul_f32_dpp v240, v252, v128 quad_perm:[0,0,0,0] row_mask:0xf bank_mask:0xf// 00000002BE20: 0BE100FA FF0000FC
	v_mul_f32_dpp v241, v252, v129 quad_perm:[1,1,1,1] row_mask:0xf bank_mask:0xf// 00000002BE28: 0BE302FA FF0055FC
	v_mul_f32_dpp v242, v252, v130 quad_perm:[2,2,2,2] row_mask:0xf bank_mask:0xf// 00000002BE30: 0BE504FA FF00AAFC
	v_mul_f32_dpp v243, v252, v131 quad_perm:[3,3,3,3] row_mask:0xf bank_mask:0xf// 00000002BE38: 0BE706FA FF00FFFC
	v_mul_f32_dpp v244, v253, v132 quad_perm:[0,0,0,0] row_mask:0xf bank_mask:0xf// 00000002BE40: 0BE908FA FF0000FD
	v_mul_f32_dpp v245, v253, v133 quad_perm:[1,1,1,1] row_mask:0xf bank_mask:0xf// 00000002BE48: 0BEB0AFA FF0055FD
	v_mul_f32_dpp v246, v253, v134 quad_perm:[2,2,2,2] row_mask:0xf bank_mask:0xf// 00000002BE50: 0BED0CFA FF00AAFD
	v_mul_f32_dpp v247, v253, v135 quad_perm:[3,3,3,3] row_mask:0xf bank_mask:0xf// 00000002BE58: 0BEF0EFA FF00FFFD
	v_mul_f32_dpp v248, v254, v136 quad_perm:[0,0,0,0] row_mask:0xf bank_mask:0xf// 00000002BE60: 0BF110FA FF0000FE
	v_mul_f32_dpp v249, v254, v137 quad_perm:[1,1,1,1] row_mask:0xf bank_mask:0xf// 00000002BE68: 0BF312FA FF0055FE
	v_mul_f32_dpp v250, v254, v138 quad_perm:[2,2,2,2] row_mask:0xf bank_mask:0xf// 00000002BE70: 0BF514FA FF00AAFE
	v_mul_f32_dpp v251, v254, v139 quad_perm:[3,3,3,3] row_mask:0xf bank_mask:0xf// 00000002BE78: 0BF716FA FF00FFFE
	v_mul_f32_dpp v252, v255, v140 quad_perm:[0,0,0,0] row_mask:0xf bank_mask:0xf// 00000002BE80: 0BF918FA FF0000FF
	v_mul_f32_dpp v253, v255, v141 quad_perm:[1,1,1,1] row_mask:0xf bank_mask:0xf// 00000002BE88: 0BFB1AFA FF0055FF
	v_mul_f32_dpp v254, v255, v142 quad_perm:[2,2,2,2] row_mask:0xf bank_mask:0xf// 00000002BE90: 0BFD1CFA FF00AAFF
	v_mul_f32_dpp v255, v255, v143 quad_perm:[3,3,3,3] row_mask:0xf bank_mask:0xf// 00000002BE98: 0BFF1EFA FF00FFFF
	v_mov_b32_e32 v48, 0x358637bd                              // 00000002BEA0: 7E6002FF 358637BD
	v_max3_f32 v48, |v240|, |v241|, v48                        // 00000002BEA8: D1D30330 04C3E3F0
	v_max3_f32 v48, |v242|, |v243|, v48                        // 00000002BEB0: D1D30330 04C3E7F2
	v_max3_f32 v48, |v244|, |v245|, v48                        // 00000002BEB8: D1D30330 04C3EBF4
	v_max3_f32 v48, |v246|, |v247|, v48                        // 00000002BEC0: D1D30330 04C3EFF6
	v_max3_f32 v48, |v248|, |v249|, v48                        // 00000002BEC8: D1D30330 04C3F3F8
	v_max3_f32 v48, |v250|, |v251|, v48                        // 00000002BED0: D1D30330 04C3F7FA
	v_max3_f32 v48, |v252|, |v253|, v48                        // 00000002BED8: D1D30330 04C3FBFC
	v_max3_f32 v48, |v254|, |v255|, v48                        // 00000002BEE0: D1D30330 04C3FFFE
	ds_write_b32 v8, v48 offset:20992                          // 00000002BEE8: D81A5200 00003008
	v_sub_f32_e32 v50, v12, v15                                // 00000002BEF0: 04641F0C
	v_cndmask_b32_e64 v50, v50, 0, s[40:41]                    // 00000002BEF4: D1000032 00A10132
	v_mov_b32_e32 v12, v15                                     // 00000002BEFC: 7E18030F
	v_mul_f32_e32 v50, s64, v50                                // 00000002BF00: 0A646440
	v_exp_f32_e32 v50, v50                                     // 00000002BF04: 7E644132
	s_waitcnt lgkmcnt(0)                                       // 00000002BF08: BF8CC07F
	s_barrier                                                  // 00000002BF0C: BF8A0000
	ds_read_b32 v64, v7 offset:20992                           // 00000002BF10: D86C5200 40000007
	ds_read_b32 v65, v7 offset:21056                           // 00000002BF18: D86C5240 41000007
	ds_read_b32 v66, v7 offset:21120                           // 00000002BF20: D86C5280 42000007
	ds_read_b32 v67, v7 offset:21184                           // 00000002BF28: D86C52C0 43000007
	ds_read_b32 v68, v7 offset:21248                           // 00000002BF30: D86C5300 44000007
	ds_read_b32 v69, v7 offset:21312                           // 00000002BF38: D86C5340 45000007
	ds_read_b32 v70, v7 offset:21376                           // 00000002BF40: D86C5380 46000007
	ds_read_b32 v71, v7 offset:21440                           // 00000002BF48: D86C53C0 47000007
	ds_read_b32 v72, v7 offset:21504                           // 00000002BF50: D86C5400 48000007
	ds_read_b32 v73, v7 offset:21568                           // 00000002BF58: D86C5440 49000007
	ds_read_b32 v74, v7 offset:21632                           // 00000002BF60: D86C5480 4A000007
	ds_read_b32 v75, v7 offset:21696                           // 00000002BF68: D86C54C0 4B000007
	ds_read_b32 v76, v7 offset:21760                           // 00000002BF70: D86C5500 4C000007
	ds_read_b32 v77, v7 offset:21824                           // 00000002BF78: D86C5540 4D000007
	ds_read_b32 v78, v7 offset:21888                           // 00000002BF80: D86C5580 4E000007
	ds_read_b32 v79, v7 offset:21952                           // 00000002BF88: D86C55C0 4F000007
	v_mul_f32_e32 v39, v50, v39                                // 00000002BF90: 0A4E4F32
	v_mov_b32_e32 v15, v128                                    // 00000002BF94: 7E1E0380
	v_add_f32_e32 v15, v129, v15                               // 00000002BF98: 021E1F81
	v_add_f32_e32 v15, v130, v15                               // 00000002BF9C: 021E1F82
	v_add_f32_e32 v15, v131, v15                               // 00000002BFA0: 021E1F83
	v_add_f32_e32 v15, v132, v15                               // 00000002BFA4: 021E1F84
	v_add_f32_e32 v15, v133, v15                               // 00000002BFA8: 021E1F85
	v_add_f32_e32 v15, v134, v15                               // 00000002BFAC: 021E1F86
	v_add_f32_e32 v15, v135, v15                               // 00000002BFB0: 021E1F87
	v_add_f32_e32 v15, v136, v15                               // 00000002BFB4: 021E1F88
	v_add_f32_e32 v15, v137, v15                               // 00000002BFB8: 021E1F89
	v_add_f32_e32 v15, v138, v15                               // 00000002BFBC: 021E1F8A
	v_add_f32_e32 v15, v139, v15                               // 00000002BFC0: 021E1F8B
	v_add_f32_e32 v15, v140, v15                               // 00000002BFC4: 021E1F8C
	v_add_f32_e32 v15, v141, v15                               // 00000002BFC8: 021E1F8D
	v_add_f32_e32 v15, v142, v15                               // 00000002BFCC: 021E1F8E
	v_add_f32_e32 v15, v143, v15                               // 00000002BFD0: 021E1F8F
	v_add_f32_e32 v39, v15, v39                                // 00000002BFD4: 024E4F0F
	s_waitcnt lgkmcnt(0)                                       // 00000002BFD8: BF8CC07F
	v_max3_f32 v48, |v64|, |v65|, v48                          // 00000002BFDC: D1D30330 04C28340
	v_max3_f32 v48, |v66|, |v67|, v48                          // 00000002BFE4: D1D30330 04C28742
	v_max3_f32 v48, |v68|, |v69|, v48                          // 00000002BFEC: D1D30330 04C28B44
	v_max3_f32 v48, |v70|, |v71|, v48                          // 00000002BFF4: D1D30330 04C28F46
	v_max3_f32 v48, |v72|, |v73|, v48                          // 00000002BFFC: D1D30330 04C29348
	v_max3_f32 v48, |v74|, |v75|, v48                          // 00000002C004: D1D30330 04C2974A
	v_max3_f32 v48, |v76|, |v77|, v48                          // 00000002C00C: D1D30330 04C29B4C
	v_max3_f32 v48, |v78|, |v79|, v48                          // 00000002C014: D1D30330 04C29F4E
	s_nop 2                                                    // 00000002C01C: BF800002
	v_rcp_f32_e32 v48, v48                                     // 00000002C020: 7E604530
	s_nop 1                                                    // 00000002C024: BF800001
	v_mul_f32_e32 v48, 0x43700000, v48                         // 00000002C028: 0A6060FF 43700000
	v_mul_f32_e32 v128, v48, v240                              // 00000002C030: 0B01E130
	v_mul_f32_e32 v129, v48, v241                              // 00000002C034: 0B03E330
	v_mul_f32_e32 v130, v48, v242                              // 00000002C038: 0B05E530
	v_mul_f32_e32 v131, v48, v243                              // 00000002C03C: 0B07E730
	v_mul_f32_e32 v132, v48, v244                              // 00000002C040: 0B09E930
	v_mul_f32_e32 v133, v48, v245                              // 00000002C044: 0B0BEB30
	v_mul_f32_e32 v134, v48, v246                              // 00000002C048: 0B0DED30
	v_mul_f32_e32 v135, v48, v247                              // 00000002C04C: 0B0FEF30
	v_mul_f32_e32 v136, v48, v248                              // 00000002C050: 0B11F130
	v_mul_f32_e32 v137, v48, v249                              // 00000002C054: 0B13F330
	v_mul_f32_e32 v138, v48, v250                              // 00000002C058: 0B15F530
	v_mul_f32_e32 v139, v48, v251                              // 00000002C05C: 0B17F730
	v_mul_f32_e32 v140, v48, v252                              // 00000002C060: 0B19F930
	v_mul_f32_e32 v141, v48, v253                              // 00000002C064: 0B1BFB30
	v_mul_f32_e32 v142, v48, v254                              // 00000002C068: 0B1DFD30
	v_mul_f32_e32 v143, v48, v255                              // 00000002C06C: 0B1FFF30
	v_cvt_pk_fp8_f32 v128, v128, v129                          // 00000002C070: D2A20080 00030380
	v_cvt_pk_fp8_f32 v128, v130, v131 op_sel:[0,0,1]           // 00000002C078: D2A24080 00030782
	v_cvt_pk_fp8_f32 v129, v132, v133                          // 00000002C080: D2A20081 00030B84
	v_cvt_pk_fp8_f32 v129, v134, v135 op_sel:[0,0,1]           // 00000002C088: D2A24081 00030F86
	v_cvt_pk_fp8_f32 v130, v136, v137                          // 00000002C090: D2A20082 00031388
	v_cvt_pk_fp8_f32 v130, v138, v139 op_sel:[0,0,1]           // 00000002C098: D2A24082 0003178A
	v_cvt_pk_fp8_f32 v131, v140, v141                          // 00000002C0A0: D2A20083 00031B8C
	v_cvt_pk_fp8_f32 v131, v142, v143 op_sel:[0,0,1]           // 00000002C0A8: D2A24083 00031F8E
	ds_write_b32 v10, v128 offset:29184                        // 00000002C0B0: D81A7200 0000800A
	ds_write_b32 v10, v129 offset:30208                        // 00000002C0B8: D81A7600 0000810A
	ds_write_b32 v10, v130 offset:31232                        // 00000002C0C0: D81A7A00 0000820A
	ds_write_b32 v10, v131 offset:32256                        // 00000002C0C8: D81A7E00 0000830A
	v_add_f32_e32 v216, v216, v184                             // 00000002C0D0: 03B171D8
	v_add_f32_e32 v217, v217, v185                             // 00000002C0D4: 03B373D9
	v_add_f32_e32 v218, v218, v186                             // 00000002C0D8: 03B575DA
	v_add_f32_e32 v219, v219, v187                             // 00000002C0DC: 03B777DB
	v_add_f32_e32 v220, v220, v188                             // 00000002C0E0: 03B979DC
	v_add_f32_e32 v221, v221, v189                             // 00000002C0E4: 03BB7BDD
	v_add_f32_e32 v222, v222, v190                             // 00000002C0E8: 03BD7DDE
	v_add_f32_e32 v223, v223, v191                             // 00000002C0EC: 03BF7FDF
	v_rcp_f32_e32 v45, v48                                     // 00000002C0F0: 7E5A4530
	s_waitcnt lgkmcnt(0)                                       // 00000002C0F4: BF8CC07F
	s_barrier                                                  // 00000002C0F8: BF8A0000
	ds_read_b64 v[128:129], v9 offset:29184                    // 00000002C0FC: D8EC7200 80000009
	ds_read_b64 v[130:131], v9 offset:29312                    // 00000002C104: D8EC7280 82000009
	ds_read_b64 v[132:133], v9 offset:30208                    // 00000002C10C: D8EC7600 84000009
	ds_read_b64 v[134:135], v9 offset:30336                    // 00000002C114: D8EC7680 86000009
	ds_read_b64 v[136:137], v9 offset:31232                    // 00000002C11C: D8EC7A00 88000009
	ds_read_b64 v[138:139], v9 offset:31360                    // 00000002C124: D8EC7A80 8A000009
	ds_read_b64 v[140:141], v9 offset:32256                    // 00000002C12C: D8EC7E00 8C000009
	ds_read_b64 v[142:143], v9 offset:32384                    // 00000002C134: D8EC7E80 8E000009
	v_mov_b32_dpp v64, v43 row_shr:4 row_mask:0xf bank_mask:0xf// 00000002C13C: 7E8002FA FF01142B
	v_mov_b32_dpp v65, v43 row_shl:4 row_mask:0xf bank_mask:0xf// 00000002C144: 7E8202FA FF01042B
	v_cndmask_b32_e64 v248, v43, v64, s[44:45]                 // 00000002C14C: D10000F8 00B2812B
	v_cndmask_b32_e64 v249, v65, v43, s[44:45]                 // 00000002C154: D10000F9 00B25741
	v_mov_b32_dpp v64, v248 row_shr:8 row_mask:0xf bank_mask:0xf// 00000002C15C: 7E8002FA FF0118F8
	v_mov_b32_dpp v65, v248 row_shl:8 row_mask:0xf bank_mask:0xf// 00000002C164: 7E8202FA FF0108F8
	v_mov_b32_dpp v66, v249 row_shr:8 row_mask:0xf bank_mask:0xf// 00000002C16C: 7E8402FA FF0118F9
	v_mov_b32_dpp v67, v249 row_shl:8 row_mask:0xf bank_mask:0xf// 00000002C174: 7E8602FA FF0108F9
	v_mov_b32_e32 v68, v248                                    // 00000002C17C: 7E8803F8
	v_mov_b32_e32 v69, v249                                    // 00000002C180: 7E8A03F9
	v_cndmask_b32_e64 v248, v68, v64, s[42:43]                 // 00000002C184: D10000F8 00AA8144
	v_cndmask_b32_e64 v250, v68, v65, s[78:79]                 // 00000002C18C: D10000FA 013A8344
	v_cndmask_b32_e64 v249, v69, v66, s[42:43]                 // 00000002C194: D10000F9 00AA8545
	v_cndmask_b32_e64 v251, v69, v67, s[78:79]                 // 00000002C19C: D10000FB 013A8745
	v_mov_b32_dpp v64, v58 row_shr:4 row_mask:0xf bank_mask:0xf// 00000002C1A4: 7E8002FA FF01143A
	v_mov_b32_dpp v65, v58 row_shl:4 row_mask:0xf bank_mask:0xf// 00000002C1AC: 7E8202FA FF01043A
	v_cndmask_b32_e64 v252, v58, v64, s[44:45]                 // 00000002C1B4: D10000FC 00B2813A
	v_cndmask_b32_e64 v253, v65, v58, s[44:45]                 // 00000002C1BC: D10000FD 00B27541
	v_mov_b32_dpp v64, v252 row_shr:8 row_mask:0xf bank_mask:0xf// 00000002C1C4: 7E8002FA FF0118FC
	v_mov_b32_dpp v65, v252 row_shl:8 row_mask:0xf bank_mask:0xf// 00000002C1CC: 7E8202FA FF0108FC
	v_mov_b32_dpp v66, v253 row_shr:8 row_mask:0xf bank_mask:0xf// 00000002C1D4: 7E8402FA FF0118FD
	v_mov_b32_dpp v67, v253 row_shl:8 row_mask:0xf bank_mask:0xf// 00000002C1DC: 7E8602FA FF0108FD
	v_mov_b32_e32 v68, v252                                    // 00000002C1E4: 7E8803FC
	v_mov_b32_e32 v69, v253                                    // 00000002C1E8: 7E8A03FD
	v_cndmask_b32_e64 v252, v68, v64, s[42:43]                 // 00000002C1EC: D10000FC 00AA8144
	v_cndmask_b32_e64 v254, v68, v65, s[78:79]                 // 00000002C1F4: D10000FE 013A8344
	v_cndmask_b32_e64 v253, v69, v66, s[42:43]                 // 00000002C1FC: D10000FD 00AA8545
	v_cndmask_b32_e64 v255, v69, v67, s[78:79]                 // 00000002C204: D10000FF 013A8745
	v_mul_f32_e32 v144, v20, v144                              // 00000002C20C: 0B212114
	v_mul_f32_e32 v145, v20, v145                              // 00000002C210: 0B232314
	v_mul_f32_e32 v146, v20, v146                              // 00000002C214: 0B252514
	v_mul_f32_e32 v147, v20, v147                              // 00000002C218: 0B272714
	v_mul_f32_e32 v148, v20, v148                              // 00000002C21C: 0B292914
	v_mul_f32_e32 v149, v20, v149                              // 00000002C220: 0B2B2B14
	v_mul_f32_e32 v150, v20, v150                              // 00000002C224: 0B2D2D14
	v_mul_f32_e32 v151, v20, v151                              // 00000002C228: 0B2F2F14
	v_mul_f32_e32 v152, v20, v152                              // 00000002C22C: 0B313114
	v_mul_f32_e32 v153, v20, v153                              // 00000002C230: 0B333314
	v_mul_f32_e32 v154, v20, v154                              // 00000002C234: 0B353514
	v_mul_f32_e32 v155, v20, v155                              // 00000002C238: 0B373714
	v_mul_f32_e32 v156, v20, v156                              // 00000002C23C: 0B393914
	v_mul_f32_e32 v157, v20, v157                              // 00000002C240: 0B3B3B14
	v_mul_f32_e32 v158, v20, v158                              // 00000002C244: 0B3D3D14
	v_mul_f32_e32 v159, v20, v159                              // 00000002C248: 0B3F3F14
	v_mul_f32_dpp v144, v248, v144 quad_perm:[0,0,0,0] row_mask:0xf bank_mask:0xf// 00000002C24C: 0B2120FA FF0000F8
	v_mul_f32_dpp v145, v248, v145 quad_perm:[1,1,1,1] row_mask:0xf bank_mask:0xf// 00000002C254: 0B2322FA FF0055F8
	v_mul_f32_dpp v146, v248, v146 quad_perm:[2,2,2,2] row_mask:0xf bank_mask:0xf// 00000002C25C: 0B2524FA FF00AAF8
	v_mul_f32_dpp v147, v248, v147 quad_perm:[3,3,3,3] row_mask:0xf bank_mask:0xf// 00000002C264: 0B2726FA FF00FFF8
	v_mul_f32_dpp v148, v249, v148 quad_perm:[0,0,0,0] row_mask:0xf bank_mask:0xf// 00000002C26C: 0B2928FA FF0000F9
	v_mul_f32_dpp v149, v249, v149 quad_perm:[1,1,1,1] row_mask:0xf bank_mask:0xf// 00000002C274: 0B2B2AFA FF0055F9
	v_mul_f32_dpp v150, v249, v150 quad_perm:[2,2,2,2] row_mask:0xf bank_mask:0xf// 00000002C27C: 0B2D2CFA FF00AAF9
	v_mul_f32_dpp v151, v249, v151 quad_perm:[3,3,3,3] row_mask:0xf bank_mask:0xf// 00000002C284: 0B2F2EFA FF00FFF9
	v_mul_f32_dpp v152, v250, v152 quad_perm:[0,0,0,0] row_mask:0xf bank_mask:0xf// 00000002C28C: 0B3130FA FF0000FA
	v_mul_f32_dpp v153, v250, v153 quad_perm:[1,1,1,1] row_mask:0xf bank_mask:0xf// 00000002C294: 0B3332FA FF0055FA
	v_mul_f32_dpp v154, v250, v154 quad_perm:[2,2,2,2] row_mask:0xf bank_mask:0xf// 00000002C29C: 0B3534FA FF00AAFA
	v_mul_f32_dpp v155, v250, v155 quad_perm:[3,3,3,3] row_mask:0xf bank_mask:0xf// 00000002C2A4: 0B3736FA FF00FFFA
	v_mul_f32_dpp v156, v251, v156 quad_perm:[0,0,0,0] row_mask:0xf bank_mask:0xf// 00000002C2AC: 0B3938FA FF0000FB
	v_mul_f32_dpp v157, v251, v157 quad_perm:[1,1,1,1] row_mask:0xf bank_mask:0xf// 00000002C2B4: 0B3B3AFA FF0055FB
	v_mul_f32_dpp v158, v251, v158 quad_perm:[2,2,2,2] row_mask:0xf bank_mask:0xf// 00000002C2BC: 0B3D3CFA FF00AAFB
	v_mul_f32_dpp v159, v251, v159 quad_perm:[3,3,3,3] row_mask:0xf bank_mask:0xf// 00000002C2C4: 0B3F3EFA FF00FFFB
	s_cmp_le_i32 s90, s89                                      // 00000002C2CC: BF05595A
	s_cbranch_scc1 label_A8A6                                  // 00000002C2D0: BF850071
	v_mov_b32_e32 v66, 0xff800000                              // 00000002C2D4: 7E8402FF FF800000
	s_mov_b32 s60, s90                                         // 00000002C2DC: BEBC005A
	s_add_u32 s61, s89, 0xff                                   // 00000002C2E0: 803DFF59 000000FF
	v_mov_b32_e32 v64, s61                                     // 00000002C2E8: 7E80023D
	v_lshrrev_b32_e32 v240, 4, v0                              // 00000002C2EC: 21E00084
	v_mul_i32_i24_e32 v240, 4, v240                            // 00000002C2F0: 0DE1E084
	v_add_u32_e32 v240, s60, v240                              // 00000002C2F4: 69E1E03C
	s_mov_b32 s61, 2                                           // 00000002C2F8: BEBD0082
	s_mul_i32 s60, 16, s7                                      // 00000002C2FC: 923C0790
	v_sub_u32_e64 v240, v240, s61                              // 00000002C300: D13500F0 00007BF0
	v_add_u32_e32 v240, s60, v240                              // 00000002C308: 69E1E03C
	v_add_u32_e32 v241, 1, v240                                // 00000002C30C: 69E3E081
	v_add_u32_e32 v242, 2, v240                                // 00000002C310: 69E5E082
	v_add_u32_e32 v243, 3, v240                                // 00000002C314: 69E7E083
	v_cmp_le_u32_e64 s[40:41], v240, v64                       // 00000002C318: D0CB0028 000281F0
	v_add_u32_e32 v240, 64, v240                               // 00000002C320: 69E1E0C0
	s_nop 0                                                    // 00000002C324: BF800000
	v_cndmask_b32_e64 v144, v66, v144, s[40:41]                // 00000002C328: D1000090 00A32142
	v_cmp_le_u32_e64 s[40:41], v241, v64                       // 00000002C330: D0CB0028 000281F1
	v_add_u32_e32 v241, 64, v241                               // 00000002C338: 69E3E2C0
	s_nop 0                                                    // 00000002C33C: BF800000
	v_cndmask_b32_e64 v145, v66, v145, s[40:41]                // 00000002C340: D1000091 00A32342
	v_cmp_le_u32_e64 s[40:41], v242, v64                       // 00000002C348: D0CB0028 000281F2
	v_add_u32_e32 v242, 64, v242                               // 00000002C350: 69E5E4C0
	s_nop 0                                                    // 00000002C354: BF800000
	v_cndmask_b32_e64 v146, v66, v146, s[40:41]                // 00000002C358: D1000092 00A32542
	v_cmp_le_u32_e64 s[40:41], v243, v64                       // 00000002C360: D0CB0028 000281F3
	v_add_u32_e32 v243, 64, v243                               // 00000002C368: 69E7E6C0
	s_nop 0                                                    // 00000002C36C: BF800000
	v_cndmask_b32_e64 v147, v66, v147, s[40:41]                // 00000002C370: D1000093 00A32742
	v_cmp_le_u32_e64 s[40:41], v240, v64                       // 00000002C378: D0CB0028 000281F0
	v_add_u32_e32 v240, 64, v240                               // 00000002C380: 69E1E0C0
	s_nop 0                                                    // 00000002C384: BF800000
	v_cndmask_b32_e64 v148, v66, v148, s[40:41]                // 00000002C388: D1000094 00A32942
	v_cmp_le_u32_e64 s[40:41], v241, v64                       // 00000002C390: D0CB0028 000281F1
	v_add_u32_e32 v241, 64, v241                               // 00000002C398: 69E3E2C0
	s_nop 0                                                    // 00000002C39C: BF800000
	v_cndmask_b32_e64 v149, v66, v149, s[40:41]                // 00000002C3A0: D1000095 00A32B42
	v_cmp_le_u32_e64 s[40:41], v242, v64                       // 00000002C3A8: D0CB0028 000281F2
	v_add_u32_e32 v242, 64, v242                               // 00000002C3B0: 69E5E4C0
	s_nop 0                                                    // 00000002C3B4: BF800000
	v_cndmask_b32_e64 v150, v66, v150, s[40:41]                // 00000002C3B8: D1000096 00A32D42
	v_cmp_le_u32_e64 s[40:41], v243, v64                       // 00000002C3C0: D0CB0028 000281F3
	v_add_u32_e32 v243, 64, v243                               // 00000002C3C8: 69E7E6C0
	s_nop 0                                                    // 00000002C3CC: BF800000
	v_cndmask_b32_e64 v151, v66, v151, s[40:41]                // 00000002C3D0: D1000097 00A32F42
	v_cmp_le_u32_e64 s[40:41], v240, v64                       // 00000002C3D8: D0CB0028 000281F0
	v_add_u32_e32 v240, 64, v240                               // 00000002C3E0: 69E1E0C0
	s_nop 0                                                    // 00000002C3E4: BF800000
	v_cndmask_b32_e64 v152, v66, v152, s[40:41]                // 00000002C3E8: D1000098 00A33142
	v_cmp_le_u32_e64 s[40:41], v241, v64                       // 00000002C3F0: D0CB0028 000281F1
	v_add_u32_e32 v241, 64, v241                               // 00000002C3F8: 69E3E2C0
	s_nop 0                                                    // 00000002C3FC: BF800000
	v_cndmask_b32_e64 v153, v66, v153, s[40:41]                // 00000002C400: D1000099 00A33342
	v_cmp_le_u32_e64 s[40:41], v242, v64                       // 00000002C408: D0CB0028 000281F2
	v_add_u32_e32 v242, 64, v242                               // 00000002C410: 69E5E4C0
	s_nop 0                                                    // 00000002C414: BF800000
	v_cndmask_b32_e64 v154, v66, v154, s[40:41]                // 00000002C418: D100009A 00A33542
	v_cmp_le_u32_e64 s[40:41], v243, v64                       // 00000002C420: D0CB0028 000281F3
	v_add_u32_e32 v243, 64, v243                               // 00000002C428: 69E7E6C0
	s_nop 0                                                    // 00000002C42C: BF800000
	v_cndmask_b32_e64 v155, v66, v155, s[40:41]                // 00000002C430: D100009B 00A33742
	v_cmp_le_u32_e64 s[40:41], v240, v64                       // 00000002C438: D0CB0028 000281F0
	v_add_u32_e32 v240, 64, v240                               // 00000002C440: 69E1E0C0
	s_nop 0                                                    // 00000002C444: BF800000
	v_cndmask_b32_e64 v156, v66, v156, s[40:41]                // 00000002C448: D100009C 00A33942
	v_cmp_le_u32_e64 s[40:41], v241, v64                       // 00000002C450: D0CB0028 000281F1
	v_add_u32_e32 v241, 64, v241                               // 00000002C458: 69E3E2C0
	s_nop 0                                                    // 00000002C45C: BF800000
	v_cndmask_b32_e64 v157, v66, v157, s[40:41]                // 00000002C460: D100009D 00A33B42
	v_cmp_le_u32_e64 s[40:41], v242, v64                       // 00000002C468: D0CB0028 000281F2
	v_add_u32_e32 v242, 64, v242                               // 00000002C470: 69E5E4C0
	s_nop 0                                                    // 00000002C474: BF800000
	v_cndmask_b32_e64 v158, v66, v158, s[40:41]                // 00000002C478: D100009E 00A33D42
	v_cmp_le_u32_e64 s[40:41], v243, v64                       // 00000002C480: D0CB0028 000281F3
	v_add_u32_e32 v243, 64, v243                               // 00000002C488: 69E7E6C0
	s_nop 0                                                    // 00000002C48C: BF800000
	v_cndmask_b32_e64 v159, v66, v159, s[40:41]                // 00000002C490: D100009F 00A33F42

000000000002c498 <label_A8A6>:
	s_and_b32 s60, s72, 0xff                                   // 00000002C498: 863CFF48 000000FF
	v_mov_b32_e32 v65, s60                                     // 00000002C4A0: 7E82023C
	v_lshrrev_b32_e32 v240, 4, v0                              // 00000002C4A4: 21E00084
	v_mul_i32_i24_e32 v240, 4, v240                            // 00000002C4A8: 0DE1E084
	s_mul_i32 s60, s7, 16                                      // 00000002C4AC: 923C9007
	v_add_u32_e32 v240, s60, v240                              // 00000002C4B0: 69E1E03C
	v_add_u32_e32 v241, 1, v240                                // 00000002C4B4: 69E3E081
	v_add_u32_e32 v242, 2, v240                                // 00000002C4B8: 69E5E082
	v_add_u32_e32 v243, 3, v240                                // 00000002C4BC: 69E7E083
	v_mov_b32_e32 v64, 0xff800000                              // 00000002C4C0: 7E8002FF FF800000
	v_cmp_lt_u32_e64 s[40:41], v240, v65                       // 00000002C4C8: D0C90028 000283F0
	v_add_u32_e32 v240, 64, v240                               // 00000002C4D0: 69E1E0C0
	s_nop 0                                                    // 00000002C4D4: BF800000
	v_cndmask_b32_e64 v144, v64, v144, s[40:41]                // 00000002C4D8: D1000090 00A32140
	v_cmp_lt_u32_e64 s[40:41], v241, v65                       // 00000002C4E0: D0C90028 000283F1
	v_add_u32_e32 v241, 64, v241                               // 00000002C4E8: 69E3E2C0
	s_nop 0                                                    // 00000002C4EC: BF800000
	v_cndmask_b32_e64 v145, v64, v145, s[40:41]                // 00000002C4F0: D1000091 00A32340
	v_cmp_lt_u32_e64 s[40:41], v242, v65                       // 00000002C4F8: D0C90028 000283F2
	v_add_u32_e32 v242, 64, v242                               // 00000002C500: 69E5E4C0
	s_nop 0                                                    // 00000002C504: BF800000
	v_cndmask_b32_e64 v146, v64, v146, s[40:41]                // 00000002C508: D1000092 00A32540
	v_cmp_lt_u32_e64 s[40:41], v243, v65                       // 00000002C510: D0C90028 000283F3
	v_add_u32_e32 v243, 64, v243                               // 00000002C518: 69E7E6C0
	s_nop 0                                                    // 00000002C51C: BF800000
	v_cndmask_b32_e64 v147, v64, v147, s[40:41]                // 00000002C520: D1000093 00A32740
	v_cmp_lt_u32_e64 s[40:41], v240, v65                       // 00000002C528: D0C90028 000283F0
	v_add_u32_e32 v240, 64, v240                               // 00000002C530: 69E1E0C0
	s_nop 0                                                    // 00000002C534: BF800000
	v_cndmask_b32_e64 v148, v64, v148, s[40:41]                // 00000002C538: D1000094 00A32940
	v_cmp_lt_u32_e64 s[40:41], v241, v65                       // 00000002C540: D0C90028 000283F1
	v_add_u32_e32 v241, 64, v241                               // 00000002C548: 69E3E2C0
	s_nop 0                                                    // 00000002C54C: BF800000
	v_cndmask_b32_e64 v149, v64, v149, s[40:41]                // 00000002C550: D1000095 00A32B40
	v_cmp_lt_u32_e64 s[40:41], v242, v65                       // 00000002C558: D0C90028 000283F2
	v_add_u32_e32 v242, 64, v242                               // 00000002C560: 69E5E4C0
	s_nop 0                                                    // 00000002C564: BF800000
	v_cndmask_b32_e64 v150, v64, v150, s[40:41]                // 00000002C568: D1000096 00A32D40
	v_cmp_lt_u32_e64 s[40:41], v243, v65                       // 00000002C570: D0C90028 000283F3
	v_add_u32_e32 v243, 64, v243                               // 00000002C578: 69E7E6C0
	s_nop 0                                                    // 00000002C57C: BF800000
	v_cndmask_b32_e64 v151, v64, v151, s[40:41]                // 00000002C580: D1000097 00A32F40
	v_cmp_lt_u32_e64 s[40:41], v240, v65                       // 00000002C588: D0C90028 000283F0
	v_add_u32_e32 v240, 64, v240                               // 00000002C590: 69E1E0C0
	s_nop 0                                                    // 00000002C594: BF800000
	v_cndmask_b32_e64 v152, v64, v152, s[40:41]                // 00000002C598: D1000098 00A33140
	v_cmp_lt_u32_e64 s[40:41], v241, v65                       // 00000002C5A0: D0C90028 000283F1
	v_add_u32_e32 v241, 64, v241                               // 00000002C5A8: 69E3E2C0
	s_nop 0                                                    // 00000002C5AC: BF800000
	v_cndmask_b32_e64 v153, v64, v153, s[40:41]                // 00000002C5B0: D1000099 00A33340
	v_cmp_lt_u32_e64 s[40:41], v242, v65                       // 00000002C5B8: D0C90028 000283F2
	v_add_u32_e32 v242, 64, v242                               // 00000002C5C0: 69E5E4C0
	s_nop 0                                                    // 00000002C5C4: BF800000
	v_cndmask_b32_e64 v154, v64, v154, s[40:41]                // 00000002C5C8: D100009A 00A33540
	v_cmp_lt_u32_e64 s[40:41], v243, v65                       // 00000002C5D0: D0C90028 000283F3
	v_add_u32_e32 v243, 64, v243                               // 00000002C5D8: 69E7E6C0
	s_nop 0                                                    // 00000002C5DC: BF800000
	v_cndmask_b32_e64 v155, v64, v155, s[40:41]                // 00000002C5E0: D100009B 00A33740
	v_cmp_lt_u32_e64 s[40:41], v240, v65                       // 00000002C5E8: D0C90028 000283F0
	v_add_u32_e32 v240, 64, v240                               // 00000002C5F0: 69E1E0C0
	s_nop 0                                                    // 00000002C5F4: BF800000
	v_cndmask_b32_e64 v156, v64, v156, s[40:41]                // 00000002C5F8: D100009C 00A33940
	v_cmp_lt_u32_e64 s[40:41], v241, v65                       // 00000002C600: D0C90028 000283F1
	v_add_u32_e32 v241, 64, v241                               // 00000002C608: 69E3E2C0
	s_nop 0                                                    // 00000002C60C: BF800000
	v_cndmask_b32_e64 v157, v64, v157, s[40:41]                // 00000002C610: D100009D 00A33B40
	v_cmp_lt_u32_e64 s[40:41], v242, v65                       // 00000002C618: D0C90028 000283F2
	v_add_u32_e32 v242, 64, v242                               // 00000002C620: 69E5E4C0
	s_nop 0                                                    // 00000002C624: BF800000
	v_cndmask_b32_e64 v158, v64, v158, s[40:41]                // 00000002C628: D100009E 00A33D40
	v_cmp_lt_u32_e64 s[40:41], v243, v65                       // 00000002C630: D0C90028 000283F3
	v_add_u32_e32 v243, 64, v243                               // 00000002C638: 69E7E6C0
	s_nop 0                                                    // 00000002C63C: BF800000
	v_cndmask_b32_e64 v159, v64, v159, s[40:41]                // 00000002C640: D100009F 00A33F40
	v_mov_b32_e32 v48, v144                                    // 00000002C648: 7E600390
	v_max3_f32 v48, v144, v145, v48                            // 00000002C64C: D1D30030 04C32390
	v_max3_f32 v48, v146, v147, v48                            // 00000002C654: D1D30030 04C32792
	v_max3_f32 v48, v148, v149, v48                            // 00000002C65C: D1D30030 04C32B94
	v_max3_f32 v48, v150, v151, v48                            // 00000002C664: D1D30030 04C32F96
	v_max3_f32 v48, v152, v153, v48                            // 00000002C66C: D1D30030 04C33398
	v_max3_f32 v48, v154, v155, v48                            // 00000002C674: D1D30030 04C3379A
	v_max3_f32 v48, v156, v157, v48                            // 00000002C67C: D1D30030 04C33B9C
	v_max3_f32 v48, v158, v159, v48                            // 00000002C684: D1D30030 04C33F9E
	ds_write_b32 v8, v48 offset:16896                          // 00000002C68C: D81A4200 00003008
	v_mul_f32_e32 v224, v51, v224                              // 00000002C694: 0BC1C133
	v_mul_f32_e32 v225, v51, v225                              // 00000002C698: 0BC3C333
	v_mul_f32_e32 v226, v51, v226                              // 00000002C69C: 0BC5C533
	v_mul_f32_e32 v227, v51, v227                              // 00000002C6A0: 0BC7C733
	v_mul_f32_e32 v228, v51, v228                              // 00000002C6A4: 0BC9C933
	v_mul_f32_e32 v229, v51, v229                              // 00000002C6A8: 0BCBCB33
	v_mul_f32_e32 v230, v51, v230                              // 00000002C6AC: 0BCDCD33
	v_mul_f32_e32 v231, v51, v231                              // 00000002C6B0: 0BCFCF33
	s_waitcnt lgkmcnt(0)                                       // 00000002C6B4: BF8CC07F
	s_barrier                                                  // 00000002C6B8: BF8A0000
	ds_read_b32 v64, v7 offset:16896                           // 00000002C6BC: D86C4200 40000007
	ds_read_b32 v65, v7 offset:16960                           // 00000002C6C4: D86C4240 41000007
	ds_read_b32 v66, v7 offset:17024                           // 00000002C6CC: D86C4280 42000007
	ds_read_b32 v67, v7 offset:17088                           // 00000002C6D4: D86C42C0 43000007
	ds_read_b32 v68, v7 offset:17152                           // 00000002C6DC: D86C4300 44000007
	ds_read_b32 v69, v7 offset:17216                           // 00000002C6E4: D86C4340 45000007
	ds_read_b32 v70, v7 offset:17280                           // 00000002C6EC: D86C4380 46000007
	ds_read_b32 v71, v7 offset:17344                           // 00000002C6F4: D86C43C0 47000007
	ds_read_b32 v72, v7 offset:17408                           // 00000002C6FC: D86C4400 48000007
	ds_read_b32 v73, v7 offset:17472                           // 00000002C704: D86C4440 49000007
	ds_read_b32 v74, v7 offset:17536                           // 00000002C70C: D86C4480 4A000007
	ds_read_b32 v75, v7 offset:17600                           // 00000002C714: D86C44C0 4B000007
	ds_read_b32 v76, v7 offset:17664                           // 00000002C71C: D86C4500 4C000007
	ds_read_b32 v77, v7 offset:17728                           // 00000002C724: D86C4540 4D000007
	ds_read_b32 v78, v7 offset:17792                           // 00000002C72C: D86C4580 4E000007
	ds_read_b32 v79, v7 offset:17856                           // 00000002C734: D86C45C0 4F000007
	v_mul_f32_e32 v192, v46, v192                              // 00000002C73C: 0B81812E
	v_mul_f32_e32 v193, v46, v193                              // 00000002C740: 0B83832E
	v_mul_f32_e32 v194, v46, v194                              // 00000002C744: 0B85852E
	v_mul_f32_e32 v195, v46, v195                              // 00000002C748: 0B87872E
	v_mul_f32_e32 v196, v46, v196                              // 00000002C74C: 0B89892E
	v_mul_f32_e32 v197, v46, v197                              // 00000002C750: 0B8B8B2E
	v_mul_f32_e32 v198, v46, v198                              // 00000002C754: 0B8D8D2E
	v_mul_f32_e32 v199, v46, v199                              // 00000002C758: 0B8F8F2E
	s_waitcnt lgkmcnt(0)                                       // 00000002C75C: BF8CC07F
	v_max3_f32 v48, v64, v65, v48                              // 00000002C760: D1D30030 04C28340
	v_max3_f32 v48, v66, v67, v48                              // 00000002C768: D1D30030 04C28742
	v_max3_f32 v48, v68, v69, v48                              // 00000002C770: D1D30030 04C28B44
	v_max3_f32 v48, v70, v71, v48                              // 00000002C778: D1D30030 04C28F46
	v_max3_f32 v48, v72, v73, v48                              // 00000002C780: D1D30030 04C29348
	v_max3_f32 v48, v74, v75, v48                              // 00000002C788: D1D30030 04C2974A
	v_max3_f32 v48, v76, v77, v48                              // 00000002C790: D1D30030 04C29B4C
	v_max3_f32 v48, v78, v79, v48                              // 00000002C798: D1D30030 04C29F4E
	v_mov_b32_e32 v64, 0xff800000                              // 00000002C7A0: 7E8002FF FF800000
	v_cmp_eq_u32_e64 s[40:41], v64, v13                        // 00000002C7A8: D0CA0028 00021B40
	s_nop 1                                                    // 00000002C7B0: BF800001
	v_max_f32_e32 v15, v48, v13                                // 00000002C7B4: 161E1B30
	v_mul_f32_e32 v53, s64, v15                                // 00000002C7B8: 0A6A1E40
	v_fma_f32 v144, v144, s64, -v53                            // 00000002C7BC: D1CB0090 84D48190
	v_fma_f32 v145, v145, s64, -v53                            // 00000002C7C4: D1CB0091 84D48191
	v_fma_f32 v146, v146, s64, -v53                            // 00000002C7CC: D1CB0092 84D48192
	v_fma_f32 v147, v147, s64, -v53                            // 00000002C7D4: D1CB0093 84D48193
	v_fma_f32 v148, v148, s64, -v53                            // 00000002C7DC: D1CB0094 84D48194
	v_fma_f32 v149, v149, s64, -v53                            // 00000002C7E4: D1CB0095 84D48195
	v_fma_f32 v150, v150, s64, -v53                            // 00000002C7EC: D1CB0096 84D48196
	v_fma_f32 v151, v151, s64, -v53                            // 00000002C7F4: D1CB0097 84D48197
	v_fma_f32 v152, v152, s64, -v53                            // 00000002C7FC: D1CB0098 84D48198
	v_fma_f32 v153, v153, s64, -v53                            // 00000002C804: D1CB0099 84D48199
	v_fma_f32 v154, v154, s64, -v53                            // 00000002C80C: D1CB009A 84D4819A
	v_fma_f32 v155, v155, s64, -v53                            // 00000002C814: D1CB009B 84D4819B
	v_fma_f32 v156, v156, s64, -v53                            // 00000002C81C: D1CB009C 84D4819C
	v_fma_f32 v157, v157, s64, -v53                            // 00000002C824: D1CB009D 84D4819D
	v_fma_f32 v158, v158, s64, -v53                            // 00000002C82C: D1CB009E 84D4819E
	v_fma_f32 v159, v159, s64, -v53                            // 00000002C834: D1CB009F 84D4819F
	v_exp_f32_e32 v144, v144                                   // 00000002C83C: 7F204190
	v_exp_f32_e32 v145, v145                                   // 00000002C840: 7F224191
	v_exp_f32_e32 v146, v146                                   // 00000002C844: 7F244192
	v_exp_f32_e32 v147, v147                                   // 00000002C848: 7F264193
	v_exp_f32_e32 v148, v148                                   // 00000002C84C: 7F284194
	v_exp_f32_e32 v149, v149                                   // 00000002C850: 7F2A4195
	v_exp_f32_e32 v150, v150                                   // 00000002C854: 7F2C4196
	v_exp_f32_e32 v151, v151                                   // 00000002C858: 7F2E4197
	v_exp_f32_e32 v152, v152                                   // 00000002C85C: 7F304198
	v_exp_f32_e32 v153, v153                                   // 00000002C860: 7F324199
	v_exp_f32_e32 v154, v154                                   // 00000002C864: 7F34419A
	v_exp_f32_e32 v155, v155                                   // 00000002C868: 7F36419B
	v_exp_f32_e32 v156, v156                                   // 00000002C86C: 7F38419C
	v_exp_f32_e32 v157, v157                                   // 00000002C870: 7F3A419D
	v_exp_f32_e32 v158, v158                                   // 00000002C874: 7F3C419E
	v_exp_f32_e32 v159, v159                                   // 00000002C878: 7F3E419F
	v_mul_f32_dpp v240, v252, v144 quad_perm:[0,0,0,0] row_mask:0xf bank_mask:0xf// 00000002C87C: 0BE120FA FF0000FC
	v_mul_f32_dpp v241, v252, v145 quad_perm:[1,1,1,1] row_mask:0xf bank_mask:0xf// 00000002C884: 0BE322FA FF0055FC
	v_mul_f32_dpp v242, v252, v146 quad_perm:[2,2,2,2] row_mask:0xf bank_mask:0xf// 00000002C88C: 0BE524FA FF00AAFC
	v_mul_f32_dpp v243, v252, v147 quad_perm:[3,3,3,3] row_mask:0xf bank_mask:0xf// 00000002C894: 0BE726FA FF00FFFC
	v_mul_f32_dpp v244, v253, v148 quad_perm:[0,0,0,0] row_mask:0xf bank_mask:0xf// 00000002C89C: 0BE928FA FF0000FD
	v_mul_f32_dpp v245, v253, v149 quad_perm:[1,1,1,1] row_mask:0xf bank_mask:0xf// 00000002C8A4: 0BEB2AFA FF0055FD
	v_mul_f32_dpp v246, v253, v150 quad_perm:[2,2,2,2] row_mask:0xf bank_mask:0xf// 00000002C8AC: 0BED2CFA FF00AAFD
	v_mul_f32_dpp v247, v253, v151 quad_perm:[3,3,3,3] row_mask:0xf bank_mask:0xf// 00000002C8B4: 0BEF2EFA FF00FFFD
	v_mul_f32_dpp v248, v254, v152 quad_perm:[0,0,0,0] row_mask:0xf bank_mask:0xf// 00000002C8BC: 0BF130FA FF0000FE
	v_mul_f32_dpp v249, v254, v153 quad_perm:[1,1,1,1] row_mask:0xf bank_mask:0xf// 00000002C8C4: 0BF332FA FF0055FE
	v_mul_f32_dpp v250, v254, v154 quad_perm:[2,2,2,2] row_mask:0xf bank_mask:0xf// 00000002C8CC: 0BF534FA FF00AAFE
	v_mul_f32_dpp v251, v254, v155 quad_perm:[3,3,3,3] row_mask:0xf bank_mask:0xf// 00000002C8D4: 0BF736FA FF00FFFE
	v_mul_f32_dpp v252, v255, v156 quad_perm:[0,0,0,0] row_mask:0xf bank_mask:0xf// 00000002C8DC: 0BF938FA FF0000FF
	v_mul_f32_dpp v253, v255, v157 quad_perm:[1,1,1,1] row_mask:0xf bank_mask:0xf// 00000002C8E4: 0BFB3AFA FF0055FF
	v_mul_f32_dpp v254, v255, v158 quad_perm:[2,2,2,2] row_mask:0xf bank_mask:0xf// 00000002C8EC: 0BFD3CFA FF00AAFF
	v_mul_f32_dpp v255, v255, v159 quad_perm:[3,3,3,3] row_mask:0xf bank_mask:0xf// 00000002C8F4: 0BFF3EFA FF00FFFF
	v_mov_b32_e32 v48, 0x358637bd                              // 00000002C8FC: 7E6002FF 358637BD
	v_max3_f32 v48, |v240|, |v241|, v48                        // 00000002C904: D1D30330 04C3E3F0
	v_max3_f32 v48, |v242|, |v243|, v48                        // 00000002C90C: D1D30330 04C3E7F2
	v_max3_f32 v48, |v244|, |v245|, v48                        // 00000002C914: D1D30330 04C3EBF4
	v_max3_f32 v48, |v246|, |v247|, v48                        // 00000002C91C: D1D30330 04C3EFF6
	v_max3_f32 v48, |v248|, |v249|, v48                        // 00000002C924: D1D30330 04C3F3F8
	v_max3_f32 v48, |v250|, |v251|, v48                        // 00000002C92C: D1D30330 04C3F7FA
	v_max3_f32 v48, |v252|, |v253|, v48                        // 00000002C934: D1D30330 04C3FBFC
	v_max3_f32 v48, |v254|, |v255|, v48                        // 00000002C93C: D1D30330 04C3FFFE
	ds_write_b32 v8, v48 offset:20992                          // 00000002C944: D81A5200 00003008
	v_sub_f32_e32 v51, v13, v15                                // 00000002C94C: 04661F0D
	v_cndmask_b32_e64 v51, v51, 0, s[40:41]                    // 00000002C950: D1000033 00A10133
	v_mov_b32_e32 v13, v15                                     // 00000002C958: 7E1A030F
	v_mul_f32_e32 v51, s64, v51                                // 00000002C95C: 0A666640
	v_exp_f32_e32 v51, v51                                     // 00000002C960: 7E664133
	s_waitcnt lgkmcnt(0)                                       // 00000002C964: BF8CC07F
	s_barrier                                                  // 00000002C968: BF8A0000
	ds_read_b32 v64, v7 offset:20992                           // 00000002C96C: D86C5200 40000007
	ds_read_b32 v65, v7 offset:21056                           // 00000002C974: D86C5240 41000007
	ds_read_b32 v66, v7 offset:21120                           // 00000002C97C: D86C5280 42000007
	ds_read_b32 v67, v7 offset:21184                           // 00000002C984: D86C52C0 43000007
	ds_read_b32 v68, v7 offset:21248                           // 00000002C98C: D86C5300 44000007
	ds_read_b32 v69, v7 offset:21312                           // 00000002C994: D86C5340 45000007
	ds_read_b32 v70, v7 offset:21376                           // 00000002C99C: D86C5380 46000007
	ds_read_b32 v71, v7 offset:21440                           // 00000002C9A4: D86C53C0 47000007
	ds_read_b32 v72, v7 offset:21504                           // 00000002C9AC: D86C5400 48000007
	ds_read_b32 v73, v7 offset:21568                           // 00000002C9B4: D86C5440 49000007
	ds_read_b32 v74, v7 offset:21632                           // 00000002C9BC: D86C5480 4A000007
	ds_read_b32 v75, v7 offset:21696                           // 00000002C9C4: D86C54C0 4B000007
	ds_read_b32 v76, v7 offset:21760                           // 00000002C9CC: D86C5500 4C000007
	ds_read_b32 v77, v7 offset:21824                           // 00000002C9D4: D86C5540 4D000007
	ds_read_b32 v78, v7 offset:21888                           // 00000002C9DC: D86C5580 4E000007
	ds_read_b32 v79, v7 offset:21952                           // 00000002C9E4: D86C55C0 4F000007
	v_mul_f32_e32 v40, v51, v40                                // 00000002C9EC: 0A505133
	v_mov_b32_e32 v15, v144                                    // 00000002C9F0: 7E1E0390
	v_add_f32_e32 v15, v145, v15                               // 00000002C9F4: 021E1F91
	v_add_f32_e32 v15, v146, v15                               // 00000002C9F8: 021E1F92
	v_add_f32_e32 v15, v147, v15                               // 00000002C9FC: 021E1F93
	v_add_f32_e32 v15, v148, v15                               // 00000002CA00: 021E1F94
	v_add_f32_e32 v15, v149, v15                               // 00000002CA04: 021E1F95
	v_add_f32_e32 v15, v150, v15                               // 00000002CA08: 021E1F96
	v_add_f32_e32 v15, v151, v15                               // 00000002CA0C: 021E1F97
	v_add_f32_e32 v15, v152, v15                               // 00000002CA10: 021E1F98
	v_add_f32_e32 v15, v153, v15                               // 00000002CA14: 021E1F99
	v_add_f32_e32 v15, v154, v15                               // 00000002CA18: 021E1F9A
	v_add_f32_e32 v15, v155, v15                               // 00000002CA1C: 021E1F9B
	v_add_f32_e32 v15, v156, v15                               // 00000002CA20: 021E1F9C
	v_add_f32_e32 v15, v157, v15                               // 00000002CA24: 021E1F9D
	v_add_f32_e32 v15, v158, v15                               // 00000002CA28: 021E1F9E
	v_add_f32_e32 v15, v159, v15                               // 00000002CA2C: 021E1F9F
	v_add_f32_e32 v40, v15, v40                                // 00000002CA30: 0250510F
	s_waitcnt lgkmcnt(0)                                       // 00000002CA34: BF8CC07F
	v_max3_f32 v48, |v64|, |v65|, v48                          // 00000002CA38: D1D30330 04C28340
	v_max3_f32 v48, |v66|, |v67|, v48                          // 00000002CA40: D1D30330 04C28742
	v_max3_f32 v48, |v68|, |v69|, v48                          // 00000002CA48: D1D30330 04C28B44
	v_max3_f32 v48, |v70|, |v71|, v48                          // 00000002CA50: D1D30330 04C28F46
	v_max3_f32 v48, |v72|, |v73|, v48                          // 00000002CA58: D1D30330 04C29348
	v_max3_f32 v48, |v74|, |v75|, v48                          // 00000002CA60: D1D30330 04C2974A
	v_max3_f32 v48, |v76|, |v77|, v48                          // 00000002CA68: D1D30330 04C29B4C
	v_max3_f32 v48, |v78|, |v79|, v48                          // 00000002CA70: D1D30330 04C29F4E
	s_nop 2                                                    // 00000002CA78: BF800002
	v_rcp_f32_e32 v48, v48                                     // 00000002CA7C: 7E604530
	s_nop 1                                                    // 00000002CA80: BF800001
	v_mul_f32_e32 v48, 0x43700000, v48                         // 00000002CA84: 0A6060FF 43700000
	v_mul_f32_e32 v144, v48, v240                              // 00000002CA8C: 0B21E130
	v_mul_f32_e32 v145, v48, v241                              // 00000002CA90: 0B23E330
	v_mul_f32_e32 v146, v48, v242                              // 00000002CA94: 0B25E530
	v_mul_f32_e32 v147, v48, v243                              // 00000002CA98: 0B27E730
	v_mul_f32_e32 v148, v48, v244                              // 00000002CA9C: 0B29E930
	v_mul_f32_e32 v149, v48, v245                              // 00000002CAA0: 0B2BEB30
	v_mul_f32_e32 v150, v48, v246                              // 00000002CAA4: 0B2DED30
	v_mul_f32_e32 v151, v48, v247                              // 00000002CAA8: 0B2FEF30
	v_mul_f32_e32 v152, v48, v248                              // 00000002CAAC: 0B31F130
	v_mul_f32_e32 v153, v48, v249                              // 00000002CAB0: 0B33F330
	v_mul_f32_e32 v154, v48, v250                              // 00000002CAB4: 0B35F530
	v_mul_f32_e32 v155, v48, v251                              // 00000002CAB8: 0B37F730
	v_mul_f32_e32 v156, v48, v252                              // 00000002CABC: 0B39F930
	v_mul_f32_e32 v157, v48, v253                              // 00000002CAC0: 0B3BFB30
	v_mul_f32_e32 v158, v48, v254                              // 00000002CAC4: 0B3DFD30
	v_mul_f32_e32 v159, v48, v255                              // 00000002CAC8: 0B3FFF30
	v_cvt_pk_fp8_f32 v144, v144, v145                          // 00000002CACC: D2A20090 00032390
	v_cvt_pk_fp8_f32 v144, v146, v147 op_sel:[0,0,1]           // 00000002CAD4: D2A24090 00032792
	v_cvt_pk_fp8_f32 v145, v148, v149                          // 00000002CADC: D2A20091 00032B94
	v_cvt_pk_fp8_f32 v145, v150, v151 op_sel:[0,0,1]           // 00000002CAE4: D2A24091 00032F96
	v_cvt_pk_fp8_f32 v146, v152, v153                          // 00000002CAEC: D2A20092 00033398
	v_cvt_pk_fp8_f32 v146, v154, v155 op_sel:[0,0,1]           // 00000002CAF4: D2A24092 0003379A
	v_cvt_pk_fp8_f32 v147, v156, v157                          // 00000002CAFC: D2A20093 00033B9C
	v_cvt_pk_fp8_f32 v147, v158, v159 op_sel:[0,0,1]           // 00000002CB04: D2A24093 00033F9E
	ds_write_b32 v10, v144 offset:33280                        // 00000002CB0C: D81A8200 0000900A
	ds_write_b32 v10, v145 offset:34304                        // 00000002CB14: D81A8600 0000910A
	ds_write_b32 v10, v146 offset:35328                        // 00000002CB1C: D81A8A00 0000920A
	ds_write_b32 v10, v147 offset:36352                        // 00000002CB24: D81A8E00 0000930A
	v_add_f32_e32 v224, v224, v192                             // 00000002CB2C: 03C181E0
	v_add_f32_e32 v225, v225, v193                             // 00000002CB30: 03C383E1
	v_add_f32_e32 v226, v226, v194                             // 00000002CB34: 03C585E2
	v_add_f32_e32 v227, v227, v195                             // 00000002CB38: 03C787E3
	v_add_f32_e32 v228, v228, v196                             // 00000002CB3C: 03C989E4
	v_add_f32_e32 v229, v229, v197                             // 00000002CB40: 03CB8BE5
	v_add_f32_e32 v230, v230, v198                             // 00000002CB44: 03CD8DE6
	v_add_f32_e32 v231, v231, v199                             // 00000002CB48: 03CF8FE7
	v_rcp_f32_e32 v46, v48                                     // 00000002CB4C: 7E5C4530
	s_waitcnt lgkmcnt(0)                                       // 00000002CB50: BF8CC07F
	s_barrier                                                  // 00000002CB54: BF8A0000
	ds_read_b64 v[144:145], v9 offset:33280                    // 00000002CB58: D8EC8200 90000009
	ds_read_b64 v[146:147], v9 offset:33408                    // 00000002CB60: D8EC8280 92000009
	ds_read_b64 v[148:149], v9 offset:34304                    // 00000002CB68: D8EC8600 94000009
	ds_read_b64 v[150:151], v9 offset:34432                    // 00000002CB70: D8EC8680 96000009
	ds_read_b64 v[152:153], v9 offset:35328                    // 00000002CB78: D8EC8A00 98000009
	ds_read_b64 v[154:155], v9 offset:35456                    // 00000002CB80: D8EC8A80 9A000009
	ds_read_b64 v[156:157], v9 offset:36352                    // 00000002CB88: D8EC8E00 9C000009
	ds_read_b64 v[158:159], v9 offset:36480                    // 00000002CB90: D8EC8E80 9E000009
	v_mov_b32_dpp v64, v43 row_shr:4 row_mask:0xf bank_mask:0xf// 00000002CB98: 7E8002FA FF01142B
	v_mov_b32_dpp v65, v43 row_shl:4 row_mask:0xf bank_mask:0xf// 00000002CBA0: 7E8202FA FF01042B
	v_cndmask_b32_e64 v248, v43, v64, s[44:45]                 // 00000002CBA8: D10000F8 00B2812B
	v_cndmask_b32_e64 v249, v65, v43, s[44:45]                 // 00000002CBB0: D10000F9 00B25741
	v_mov_b32_dpp v64, v248 row_shr:8 row_mask:0xf bank_mask:0xf// 00000002CBB8: 7E8002FA FF0118F8
	v_mov_b32_dpp v65, v248 row_shl:8 row_mask:0xf bank_mask:0xf// 00000002CBC0: 7E8202FA FF0108F8
	v_mov_b32_dpp v66, v249 row_shr:8 row_mask:0xf bank_mask:0xf// 00000002CBC8: 7E8402FA FF0118F9
	v_mov_b32_dpp v67, v249 row_shl:8 row_mask:0xf bank_mask:0xf// 00000002CBD0: 7E8602FA FF0108F9
	v_mov_b32_e32 v68, v248                                    // 00000002CBD8: 7E8803F8
	v_mov_b32_e32 v69, v249                                    // 00000002CBDC: 7E8A03F9
	v_cndmask_b32_e64 v248, v68, v64, s[42:43]                 // 00000002CBE0: D10000F8 00AA8144
	v_cndmask_b32_e64 v250, v68, v65, s[78:79]                 // 00000002CBE8: D10000FA 013A8344
	v_cndmask_b32_e64 v249, v69, v66, s[42:43]                 // 00000002CBF0: D10000F9 00AA8545
	v_cndmask_b32_e64 v251, v69, v67, s[78:79]                 // 00000002CBF8: D10000FB 013A8745
	v_mov_b32_dpp v64, v58 row_shr:4 row_mask:0xf bank_mask:0xf// 00000002CC00: 7E8002FA FF01143A
	v_mov_b32_dpp v65, v58 row_shl:4 row_mask:0xf bank_mask:0xf// 00000002CC08: 7E8202FA FF01043A
	v_cndmask_b32_e64 v252, v58, v64, s[44:45]                 // 00000002CC10: D10000FC 00B2813A
	v_cndmask_b32_e64 v253, v65, v58, s[44:45]                 // 00000002CC18: D10000FD 00B27541
	v_mov_b32_dpp v64, v252 row_shr:8 row_mask:0xf bank_mask:0xf// 00000002CC20: 7E8002FA FF0118FC
	v_mov_b32_dpp v65, v252 row_shl:8 row_mask:0xf bank_mask:0xf// 00000002CC28: 7E8202FA FF0108FC
	v_mov_b32_dpp v66, v253 row_shr:8 row_mask:0xf bank_mask:0xf// 00000002CC30: 7E8402FA FF0118FD
	v_mov_b32_dpp v67, v253 row_shl:8 row_mask:0xf bank_mask:0xf// 00000002CC38: 7E8602FA FF0108FD
	v_mov_b32_e32 v68, v252                                    // 00000002CC40: 7E8803FC
	v_mov_b32_e32 v69, v253                                    // 00000002CC44: 7E8A03FD
	v_cndmask_b32_e64 v252, v68, v64, s[42:43]                 // 00000002CC48: D10000FC 00AA8144
	v_cndmask_b32_e64 v254, v68, v65, s[78:79]                 // 00000002CC50: D10000FE 013A8344
	v_cndmask_b32_e64 v253, v69, v66, s[42:43]                 // 00000002CC58: D10000FD 00AA8545
	v_cndmask_b32_e64 v255, v69, v67, s[78:79]                 // 00000002CC60: D10000FF 013A8745
	v_mul_f32_e32 v160, v21, v160                              // 00000002CC68: 0B414115
	v_mul_f32_e32 v161, v21, v161                              // 00000002CC6C: 0B434315
	v_mul_f32_e32 v162, v21, v162                              // 00000002CC70: 0B454515
	v_mul_f32_e32 v163, v21, v163                              // 00000002CC74: 0B474715
	v_mul_f32_e32 v164, v21, v164                              // 00000002CC78: 0B494915
	v_mul_f32_e32 v165, v21, v165                              // 00000002CC7C: 0B4B4B15
	v_mul_f32_e32 v166, v21, v166                              // 00000002CC80: 0B4D4D15
	v_mul_f32_e32 v167, v21, v167                              // 00000002CC84: 0B4F4F15
	v_mul_f32_e32 v168, v21, v168                              // 00000002CC88: 0B515115
	v_mul_f32_e32 v169, v21, v169                              // 00000002CC8C: 0B535315
	v_mul_f32_e32 v170, v21, v170                              // 00000002CC90: 0B555515
	v_mul_f32_e32 v171, v21, v171                              // 00000002CC94: 0B575715
	v_mul_f32_e32 v172, v21, v172                              // 00000002CC98: 0B595915
	v_mul_f32_e32 v173, v21, v173                              // 00000002CC9C: 0B5B5B15
	v_mul_f32_e32 v174, v21, v174                              // 00000002CCA0: 0B5D5D15
	v_mul_f32_e32 v175, v21, v175                              // 00000002CCA4: 0B5F5F15
	v_mul_f32_dpp v160, v248, v160 quad_perm:[0,0,0,0] row_mask:0xf bank_mask:0xf// 00000002CCA8: 0B4140FA FF0000F8
	v_mul_f32_dpp v161, v248, v161 quad_perm:[1,1,1,1] row_mask:0xf bank_mask:0xf// 00000002CCB0: 0B4342FA FF0055F8
	v_mul_f32_dpp v162, v248, v162 quad_perm:[2,2,2,2] row_mask:0xf bank_mask:0xf// 00000002CCB8: 0B4544FA FF00AAF8
	v_mul_f32_dpp v163, v248, v163 quad_perm:[3,3,3,3] row_mask:0xf bank_mask:0xf// 00000002CCC0: 0B4746FA FF00FFF8
	v_mul_f32_dpp v164, v249, v164 quad_perm:[0,0,0,0] row_mask:0xf bank_mask:0xf// 00000002CCC8: 0B4948FA FF0000F9
	v_mul_f32_dpp v165, v249, v165 quad_perm:[1,1,1,1] row_mask:0xf bank_mask:0xf// 00000002CCD0: 0B4B4AFA FF0055F9
	v_mul_f32_dpp v166, v249, v166 quad_perm:[2,2,2,2] row_mask:0xf bank_mask:0xf// 00000002CCD8: 0B4D4CFA FF00AAF9
	v_mul_f32_dpp v167, v249, v167 quad_perm:[3,3,3,3] row_mask:0xf bank_mask:0xf// 00000002CCE0: 0B4F4EFA FF00FFF9
	v_mul_f32_dpp v168, v250, v168 quad_perm:[0,0,0,0] row_mask:0xf bank_mask:0xf// 00000002CCE8: 0B5150FA FF0000FA
	v_mul_f32_dpp v169, v250, v169 quad_perm:[1,1,1,1] row_mask:0xf bank_mask:0xf// 00000002CCF0: 0B5352FA FF0055FA
	v_mul_f32_dpp v170, v250, v170 quad_perm:[2,2,2,2] row_mask:0xf bank_mask:0xf// 00000002CCF8: 0B5554FA FF00AAFA
	v_mul_f32_dpp v171, v250, v171 quad_perm:[3,3,3,3] row_mask:0xf bank_mask:0xf// 00000002CD00: 0B5756FA FF00FFFA
	v_mul_f32_dpp v172, v251, v172 quad_perm:[0,0,0,0] row_mask:0xf bank_mask:0xf// 00000002CD08: 0B5958FA FF0000FB
	v_mul_f32_dpp v173, v251, v173 quad_perm:[1,1,1,1] row_mask:0xf bank_mask:0xf// 00000002CD10: 0B5B5AFA FF0055FB
	v_mul_f32_dpp v174, v251, v174 quad_perm:[2,2,2,2] row_mask:0xf bank_mask:0xf// 00000002CD18: 0B5D5CFA FF00AAFB
	v_mul_f32_dpp v175, v251, v175 quad_perm:[3,3,3,3] row_mask:0xf bank_mask:0xf// 00000002CD20: 0B5F5EFA FF00FFFB
	s_cmp_le_i32 s90, s89                                      // 00000002CD28: BF05595A
	s_cbranch_scc1 label_AB3D                                  // 00000002CD2C: BF850071
	v_mov_b32_e32 v66, 0xff800000                              // 00000002CD30: 7E8402FF FF800000
	s_mov_b32 s60, s90                                         // 00000002CD38: BEBC005A
	s_add_u32 s61, s89, 0xff                                   // 00000002CD3C: 803DFF59 000000FF
	v_mov_b32_e32 v64, s61                                     // 00000002CD44: 7E80023D
	v_lshrrev_b32_e32 v240, 4, v0                              // 00000002CD48: 21E00084
	v_mul_i32_i24_e32 v240, 4, v240                            // 00000002CD4C: 0DE1E084
	v_add_u32_e32 v240, s60, v240                              // 00000002CD50: 69E1E03C
	s_mov_b32 s61, 3                                           // 00000002CD54: BEBD0083
	s_mul_i32 s60, 16, s7                                      // 00000002CD58: 923C0790
	v_sub_u32_e64 v240, v240, s61                              // 00000002CD5C: D13500F0 00007BF0
	v_add_u32_e32 v240, s60, v240                              // 00000002CD64: 69E1E03C
	v_add_u32_e32 v241, 1, v240                                // 00000002CD68: 69E3E081
	v_add_u32_e32 v242, 2, v240                                // 00000002CD6C: 69E5E082
	v_add_u32_e32 v243, 3, v240                                // 00000002CD70: 69E7E083
	v_cmp_le_u32_e64 s[40:41], v240, v64                       // 00000002CD74: D0CB0028 000281F0
	v_add_u32_e32 v240, 64, v240                               // 00000002CD7C: 69E1E0C0
	s_nop 0                                                    // 00000002CD80: BF800000
	v_cndmask_b32_e64 v160, v66, v160, s[40:41]                // 00000002CD84: D10000A0 00A34142
	v_cmp_le_u32_e64 s[40:41], v241, v64                       // 00000002CD8C: D0CB0028 000281F1
	v_add_u32_e32 v241, 64, v241                               // 00000002CD94: 69E3E2C0
	s_nop 0                                                    // 00000002CD98: BF800000
	v_cndmask_b32_e64 v161, v66, v161, s[40:41]                // 00000002CD9C: D10000A1 00A34342
	v_cmp_le_u32_e64 s[40:41], v242, v64                       // 00000002CDA4: D0CB0028 000281F2
	v_add_u32_e32 v242, 64, v242                               // 00000002CDAC: 69E5E4C0
	s_nop 0                                                    // 00000002CDB0: BF800000
	v_cndmask_b32_e64 v162, v66, v162, s[40:41]                // 00000002CDB4: D10000A2 00A34542
	v_cmp_le_u32_e64 s[40:41], v243, v64                       // 00000002CDBC: D0CB0028 000281F3
	v_add_u32_e32 v243, 64, v243                               // 00000002CDC4: 69E7E6C0
	s_nop 0                                                    // 00000002CDC8: BF800000
	v_cndmask_b32_e64 v163, v66, v163, s[40:41]                // 00000002CDCC: D10000A3 00A34742
	v_cmp_le_u32_e64 s[40:41], v240, v64                       // 00000002CDD4: D0CB0028 000281F0
	v_add_u32_e32 v240, 64, v240                               // 00000002CDDC: 69E1E0C0
	s_nop 0                                                    // 00000002CDE0: BF800000
	v_cndmask_b32_e64 v164, v66, v164, s[40:41]                // 00000002CDE4: D10000A4 00A34942
	v_cmp_le_u32_e64 s[40:41], v241, v64                       // 00000002CDEC: D0CB0028 000281F1
	v_add_u32_e32 v241, 64, v241                               // 00000002CDF4: 69E3E2C0
	s_nop 0                                                    // 00000002CDF8: BF800000
	v_cndmask_b32_e64 v165, v66, v165, s[40:41]                // 00000002CDFC: D10000A5 00A34B42
	v_cmp_le_u32_e64 s[40:41], v242, v64                       // 00000002CE04: D0CB0028 000281F2
	v_add_u32_e32 v242, 64, v242                               // 00000002CE0C: 69E5E4C0
	s_nop 0                                                    // 00000002CE10: BF800000
	v_cndmask_b32_e64 v166, v66, v166, s[40:41]                // 00000002CE14: D10000A6 00A34D42
	v_cmp_le_u32_e64 s[40:41], v243, v64                       // 00000002CE1C: D0CB0028 000281F3
	v_add_u32_e32 v243, 64, v243                               // 00000002CE24: 69E7E6C0
	s_nop 0                                                    // 00000002CE28: BF800000
	v_cndmask_b32_e64 v167, v66, v167, s[40:41]                // 00000002CE2C: D10000A7 00A34F42
	v_cmp_le_u32_e64 s[40:41], v240, v64                       // 00000002CE34: D0CB0028 000281F0
	v_add_u32_e32 v240, 64, v240                               // 00000002CE3C: 69E1E0C0
	s_nop 0                                                    // 00000002CE40: BF800000
	v_cndmask_b32_e64 v168, v66, v168, s[40:41]                // 00000002CE44: D10000A8 00A35142
	v_cmp_le_u32_e64 s[40:41], v241, v64                       // 00000002CE4C: D0CB0028 000281F1
	v_add_u32_e32 v241, 64, v241                               // 00000002CE54: 69E3E2C0
	s_nop 0                                                    // 00000002CE58: BF800000
	v_cndmask_b32_e64 v169, v66, v169, s[40:41]                // 00000002CE5C: D10000A9 00A35342
	v_cmp_le_u32_e64 s[40:41], v242, v64                       // 00000002CE64: D0CB0028 000281F2
	v_add_u32_e32 v242, 64, v242                               // 00000002CE6C: 69E5E4C0
	s_nop 0                                                    // 00000002CE70: BF800000
	v_cndmask_b32_e64 v170, v66, v170, s[40:41]                // 00000002CE74: D10000AA 00A35542
	v_cmp_le_u32_e64 s[40:41], v243, v64                       // 00000002CE7C: D0CB0028 000281F3
	v_add_u32_e32 v243, 64, v243                               // 00000002CE84: 69E7E6C0
	s_nop 0                                                    // 00000002CE88: BF800000
	v_cndmask_b32_e64 v171, v66, v171, s[40:41]                // 00000002CE8C: D10000AB 00A35742
	v_cmp_le_u32_e64 s[40:41], v240, v64                       // 00000002CE94: D0CB0028 000281F0
	v_add_u32_e32 v240, 64, v240                               // 00000002CE9C: 69E1E0C0
	s_nop 0                                                    // 00000002CEA0: BF800000
	v_cndmask_b32_e64 v172, v66, v172, s[40:41]                // 00000002CEA4: D10000AC 00A35942
	v_cmp_le_u32_e64 s[40:41], v241, v64                       // 00000002CEAC: D0CB0028 000281F1
	v_add_u32_e32 v241, 64, v241                               // 00000002CEB4: 69E3E2C0
	s_nop 0                                                    // 00000002CEB8: BF800000
	v_cndmask_b32_e64 v173, v66, v173, s[40:41]                // 00000002CEBC: D10000AD 00A35B42
	v_cmp_le_u32_e64 s[40:41], v242, v64                       // 00000002CEC4: D0CB0028 000281F2
	v_add_u32_e32 v242, 64, v242                               // 00000002CECC: 69E5E4C0
	s_nop 0                                                    // 00000002CED0: BF800000
	v_cndmask_b32_e64 v174, v66, v174, s[40:41]                // 00000002CED4: D10000AE 00A35D42
	v_cmp_le_u32_e64 s[40:41], v243, v64                       // 00000002CEDC: D0CB0028 000281F3
	v_add_u32_e32 v243, 64, v243                               // 00000002CEE4: 69E7E6C0
	s_nop 0                                                    // 00000002CEE8: BF800000
	v_cndmask_b32_e64 v175, v66, v175, s[40:41]                // 00000002CEEC: D10000AF 00A35F42

000000000002cef4 <label_AB3D>:
	s_add_u32 s90, s91, s90                                    // 00000002CEF4: 805A5A5B
	s_and_b32 s60, s72, 0xff                                   // 00000002CEF8: 863CFF48 000000FF
	v_mov_b32_e32 v65, s60                                     // 00000002CF00: 7E82023C
	v_lshrrev_b32_e32 v240, 4, v0                              // 00000002CF04: 21E00084
	v_mul_i32_i24_e32 v240, 4, v240                            // 00000002CF08: 0DE1E084
	s_mul_i32 s60, s7, 16                                      // 00000002CF0C: 923C9007
	v_add_u32_e32 v240, s60, v240                              // 00000002CF10: 69E1E03C
	v_add_u32_e32 v241, 1, v240                                // 00000002CF14: 69E3E081
	v_add_u32_e32 v242, 2, v240                                // 00000002CF18: 69E5E082
	v_add_u32_e32 v243, 3, v240                                // 00000002CF1C: 69E7E083
	v_mov_b32_e32 v64, 0xff800000                              // 00000002CF20: 7E8002FF FF800000
	v_cmp_lt_u32_e64 s[40:41], v240, v65                       // 00000002CF28: D0C90028 000283F0
	v_add_u32_e32 v240, 64, v240                               // 00000002CF30: 69E1E0C0
	s_nop 0                                                    // 00000002CF34: BF800000
	v_cndmask_b32_e64 v160, v64, v160, s[40:41]                // 00000002CF38: D10000A0 00A34140
	v_cmp_lt_u32_e64 s[40:41], v241, v65                       // 00000002CF40: D0C90028 000283F1
	v_add_u32_e32 v241, 64, v241                               // 00000002CF48: 69E3E2C0
	s_nop 0                                                    // 00000002CF4C: BF800000
	v_cndmask_b32_e64 v161, v64, v161, s[40:41]                // 00000002CF50: D10000A1 00A34340
	v_cmp_lt_u32_e64 s[40:41], v242, v65                       // 00000002CF58: D0C90028 000283F2
	v_add_u32_e32 v242, 64, v242                               // 00000002CF60: 69E5E4C0
	s_nop 0                                                    // 00000002CF64: BF800000
	v_cndmask_b32_e64 v162, v64, v162, s[40:41]                // 00000002CF68: D10000A2 00A34540
	v_cmp_lt_u32_e64 s[40:41], v243, v65                       // 00000002CF70: D0C90028 000283F3
	v_add_u32_e32 v243, 64, v243                               // 00000002CF78: 69E7E6C0
	s_nop 0                                                    // 00000002CF7C: BF800000
	v_cndmask_b32_e64 v163, v64, v163, s[40:41]                // 00000002CF80: D10000A3 00A34740
	v_cmp_lt_u32_e64 s[40:41], v240, v65                       // 00000002CF88: D0C90028 000283F0
	v_add_u32_e32 v240, 64, v240                               // 00000002CF90: 69E1E0C0
	s_nop 0                                                    // 00000002CF94: BF800000
	v_cndmask_b32_e64 v164, v64, v164, s[40:41]                // 00000002CF98: D10000A4 00A34940
	v_cmp_lt_u32_e64 s[40:41], v241, v65                       // 00000002CFA0: D0C90028 000283F1
	v_add_u32_e32 v241, 64, v241                               // 00000002CFA8: 69E3E2C0
	s_nop 0                                                    // 00000002CFAC: BF800000
	v_cndmask_b32_e64 v165, v64, v165, s[40:41]                // 00000002CFB0: D10000A5 00A34B40
	v_cmp_lt_u32_e64 s[40:41], v242, v65                       // 00000002CFB8: D0C90028 000283F2
	v_add_u32_e32 v242, 64, v242                               // 00000002CFC0: 69E5E4C0
	s_nop 0                                                    // 00000002CFC4: BF800000
	v_cndmask_b32_e64 v166, v64, v166, s[40:41]                // 00000002CFC8: D10000A6 00A34D40
	v_cmp_lt_u32_e64 s[40:41], v243, v65                       // 00000002CFD0: D0C90028 000283F3
	v_add_u32_e32 v243, 64, v243                               // 00000002CFD8: 69E7E6C0
	s_nop 0                                                    // 00000002CFDC: BF800000
	v_cndmask_b32_e64 v167, v64, v167, s[40:41]                // 00000002CFE0: D10000A7 00A34F40
	v_cmp_lt_u32_e64 s[40:41], v240, v65                       // 00000002CFE8: D0C90028 000283F0
	v_add_u32_e32 v240, 64, v240                               // 00000002CFF0: 69E1E0C0
	s_nop 0                                                    // 00000002CFF4: BF800000
	v_cndmask_b32_e64 v168, v64, v168, s[40:41]                // 00000002CFF8: D10000A8 00A35140
	v_cmp_lt_u32_e64 s[40:41], v241, v65                       // 00000002D000: D0C90028 000283F1
	v_add_u32_e32 v241, 64, v241                               // 00000002D008: 69E3E2C0
	s_nop 0                                                    // 00000002D00C: BF800000
	v_cndmask_b32_e64 v169, v64, v169, s[40:41]                // 00000002D010: D10000A9 00A35340
	v_cmp_lt_u32_e64 s[40:41], v242, v65                       // 00000002D018: D0C90028 000283F2
	v_add_u32_e32 v242, 64, v242                               // 00000002D020: 69E5E4C0
	s_nop 0                                                    // 00000002D024: BF800000
	v_cndmask_b32_e64 v170, v64, v170, s[40:41]                // 00000002D028: D10000AA 00A35540
	v_cmp_lt_u32_e64 s[40:41], v243, v65                       // 00000002D030: D0C90028 000283F3
	v_add_u32_e32 v243, 64, v243                               // 00000002D038: 69E7E6C0
	s_nop 0                                                    // 00000002D03C: BF800000
	v_cndmask_b32_e64 v171, v64, v171, s[40:41]                // 00000002D040: D10000AB 00A35740
	v_cmp_lt_u32_e64 s[40:41], v240, v65                       // 00000002D048: D0C90028 000283F0
	v_add_u32_e32 v240, 64, v240                               // 00000002D050: 69E1E0C0
	s_nop 0                                                    // 00000002D054: BF800000
	v_cndmask_b32_e64 v172, v64, v172, s[40:41]                // 00000002D058: D10000AC 00A35940
	v_cmp_lt_u32_e64 s[40:41], v241, v65                       // 00000002D060: D0C90028 000283F1
	v_add_u32_e32 v241, 64, v241                               // 00000002D068: 69E3E2C0
	s_nop 0                                                    // 00000002D06C: BF800000
	v_cndmask_b32_e64 v173, v64, v173, s[40:41]                // 00000002D070: D10000AD 00A35B40
	v_cmp_lt_u32_e64 s[40:41], v242, v65                       // 00000002D078: D0C90028 000283F2
	v_add_u32_e32 v242, 64, v242                               // 00000002D080: 69E5E4C0
	s_nop 0                                                    // 00000002D084: BF800000
	v_cndmask_b32_e64 v174, v64, v174, s[40:41]                // 00000002D088: D10000AE 00A35D40
	v_cmp_lt_u32_e64 s[40:41], v243, v65                       // 00000002D090: D0C90028 000283F3
	v_add_u32_e32 v243, 64, v243                               // 00000002D098: 69E7E6C0
	s_nop 0                                                    // 00000002D09C: BF800000
	v_cndmask_b32_e64 v175, v64, v175, s[40:41]                // 00000002D0A0: D10000AF 00A35F40
	v_mov_b32_e32 v48, v160                                    // 00000002D0A8: 7E6003A0
	v_max3_f32 v48, v160, v161, v48                            // 00000002D0AC: D1D30030 04C343A0
	v_max3_f32 v48, v162, v163, v48                            // 00000002D0B4: D1D30030 04C347A2
	v_max3_f32 v48, v164, v165, v48                            // 00000002D0BC: D1D30030 04C34BA4
	v_max3_f32 v48, v166, v167, v48                            // 00000002D0C4: D1D30030 04C34FA6
	v_max3_f32 v48, v168, v169, v48                            // 00000002D0CC: D1D30030 04C353A8
	v_max3_f32 v48, v170, v171, v48                            // 00000002D0D4: D1D30030 04C357AA
	v_max3_f32 v48, v172, v173, v48                            // 00000002D0DC: D1D30030 04C35BAC
	v_max3_f32 v48, v174, v175, v48                            // 00000002D0E4: D1D30030 04C35FAE
	ds_write_b32 v8, v48 offset:16896                          // 00000002D0EC: D81A4200 00003008
	v_mul_f32_e32 v232, v52, v232                              // 00000002D0F4: 0BD1D134
	v_mul_f32_e32 v233, v52, v233                              // 00000002D0F8: 0BD3D334
	v_mul_f32_e32 v234, v52, v234                              // 00000002D0FC: 0BD5D534
	v_mul_f32_e32 v235, v52, v235                              // 00000002D100: 0BD7D734
	v_mul_f32_e32 v236, v52, v236                              // 00000002D104: 0BD9D934
	v_mul_f32_e32 v237, v52, v237                              // 00000002D108: 0BDBDB34
	v_mul_f32_e32 v238, v52, v238                              // 00000002D10C: 0BDDDD34
	v_mul_f32_e32 v239, v52, v239                              // 00000002D110: 0BDFDF34
	s_waitcnt lgkmcnt(0)                                       // 00000002D114: BF8CC07F
	s_barrier                                                  // 00000002D118: BF8A0000
	ds_read_b32 v64, v7 offset:16896                           // 00000002D11C: D86C4200 40000007
	ds_read_b32 v65, v7 offset:16960                           // 00000002D124: D86C4240 41000007
	ds_read_b32 v66, v7 offset:17024                           // 00000002D12C: D86C4280 42000007
	ds_read_b32 v67, v7 offset:17088                           // 00000002D134: D86C42C0 43000007
	ds_read_b32 v68, v7 offset:17152                           // 00000002D13C: D86C4300 44000007
	ds_read_b32 v69, v7 offset:17216                           // 00000002D144: D86C4340 45000007
	ds_read_b32 v70, v7 offset:17280                           // 00000002D14C: D86C4380 46000007
	ds_read_b32 v71, v7 offset:17344                           // 00000002D154: D86C43C0 47000007
	ds_read_b32 v72, v7 offset:17408                           // 00000002D15C: D86C4400 48000007
	ds_read_b32 v73, v7 offset:17472                           // 00000002D164: D86C4440 49000007
	ds_read_b32 v74, v7 offset:17536                           // 00000002D16C: D86C4480 4A000007
	ds_read_b32 v75, v7 offset:17600                           // 00000002D174: D86C44C0 4B000007
	ds_read_b32 v76, v7 offset:17664                           // 00000002D17C: D86C4500 4C000007
	ds_read_b32 v77, v7 offset:17728                           // 00000002D184: D86C4540 4D000007
	ds_read_b32 v78, v7 offset:17792                           // 00000002D18C: D86C4580 4E000007
	ds_read_b32 v79, v7 offset:17856                           // 00000002D194: D86C45C0 4F000007
	v_mul_f32_e32 v200, v47, v200                              // 00000002D19C: 0B91912F
	v_mul_f32_e32 v201, v47, v201                              // 00000002D1A0: 0B93932F
	v_mul_f32_e32 v202, v47, v202                              // 00000002D1A4: 0B95952F
	v_mul_f32_e32 v203, v47, v203                              // 00000002D1A8: 0B97972F
	v_mul_f32_e32 v204, v47, v204                              // 00000002D1AC: 0B99992F
	v_mul_f32_e32 v205, v47, v205                              // 00000002D1B0: 0B9B9B2F
	v_mul_f32_e32 v206, v47, v206                              // 00000002D1B4: 0B9D9D2F
	v_mul_f32_e32 v207, v47, v207                              // 00000002D1B8: 0B9F9F2F
	s_waitcnt lgkmcnt(0)                                       // 00000002D1BC: BF8CC07F
	v_max3_f32 v48, v64, v65, v48                              // 00000002D1C0: D1D30030 04C28340
	v_max3_f32 v48, v66, v67, v48                              // 00000002D1C8: D1D30030 04C28742
	v_max3_f32 v48, v68, v69, v48                              // 00000002D1D0: D1D30030 04C28B44
	v_max3_f32 v48, v70, v71, v48                              // 00000002D1D8: D1D30030 04C28F46
	v_max3_f32 v48, v72, v73, v48                              // 00000002D1E0: D1D30030 04C29348
	v_max3_f32 v48, v74, v75, v48                              // 00000002D1E8: D1D30030 04C2974A
	v_max3_f32 v48, v76, v77, v48                              // 00000002D1F0: D1D30030 04C29B4C
	v_max3_f32 v48, v78, v79, v48                              // 00000002D1F8: D1D30030 04C29F4E
	v_mov_b32_e32 v64, 0xff800000                              // 00000002D200: 7E8002FF FF800000
	v_cmp_eq_u32_e64 s[40:41], v64, v14                        // 00000002D208: D0CA0028 00021D40
	s_nop 1                                                    // 00000002D210: BF800001
	v_max_f32_e32 v15, v48, v14                                // 00000002D214: 161E1D30
	v_mul_f32_e32 v53, s64, v15                                // 00000002D218: 0A6A1E40
	v_fma_f32 v160, v160, s64, -v53                            // 00000002D21C: D1CB00A0 84D481A0
	v_fma_f32 v161, v161, s64, -v53                            // 00000002D224: D1CB00A1 84D481A1
	v_fma_f32 v162, v162, s64, -v53                            // 00000002D22C: D1CB00A2 84D481A2
	v_fma_f32 v163, v163, s64, -v53                            // 00000002D234: D1CB00A3 84D481A3
	v_fma_f32 v164, v164, s64, -v53                            // 00000002D23C: D1CB00A4 84D481A4
	v_fma_f32 v165, v165, s64, -v53                            // 00000002D244: D1CB00A5 84D481A5
	v_fma_f32 v166, v166, s64, -v53                            // 00000002D24C: D1CB00A6 84D481A6
	v_fma_f32 v167, v167, s64, -v53                            // 00000002D254: D1CB00A7 84D481A7
	v_fma_f32 v168, v168, s64, -v53                            // 00000002D25C: D1CB00A8 84D481A8
	v_fma_f32 v169, v169, s64, -v53                            // 00000002D264: D1CB00A9 84D481A9
	v_fma_f32 v170, v170, s64, -v53                            // 00000002D26C: D1CB00AA 84D481AA
	v_fma_f32 v171, v171, s64, -v53                            // 00000002D274: D1CB00AB 84D481AB
	v_fma_f32 v172, v172, s64, -v53                            // 00000002D27C: D1CB00AC 84D481AC
	v_fma_f32 v173, v173, s64, -v53                            // 00000002D284: D1CB00AD 84D481AD
	v_fma_f32 v174, v174, s64, -v53                            // 00000002D28C: D1CB00AE 84D481AE
	v_fma_f32 v175, v175, s64, -v53                            // 00000002D294: D1CB00AF 84D481AF
	v_exp_f32_e32 v160, v160                                   // 00000002D29C: 7F4041A0
	v_exp_f32_e32 v161, v161                                   // 00000002D2A0: 7F4241A1
	v_exp_f32_e32 v162, v162                                   // 00000002D2A4: 7F4441A2
	v_exp_f32_e32 v163, v163                                   // 00000002D2A8: 7F4641A3
	v_exp_f32_e32 v164, v164                                   // 00000002D2AC: 7F4841A4
	v_exp_f32_e32 v165, v165                                   // 00000002D2B0: 7F4A41A5
	v_exp_f32_e32 v166, v166                                   // 00000002D2B4: 7F4C41A6
	v_exp_f32_e32 v167, v167                                   // 00000002D2B8: 7F4E41A7
	v_exp_f32_e32 v168, v168                                   // 00000002D2BC: 7F5041A8
	v_exp_f32_e32 v169, v169                                   // 00000002D2C0: 7F5241A9
	v_exp_f32_e32 v170, v170                                   // 00000002D2C4: 7F5441AA
	v_exp_f32_e32 v171, v171                                   // 00000002D2C8: 7F5641AB
	v_exp_f32_e32 v172, v172                                   // 00000002D2CC: 7F5841AC
	v_exp_f32_e32 v173, v173                                   // 00000002D2D0: 7F5A41AD
	v_exp_f32_e32 v174, v174                                   // 00000002D2D4: 7F5C41AE
	v_exp_f32_e32 v175, v175                                   // 00000002D2D8: 7F5E41AF
	v_mul_f32_dpp v240, v252, v160 quad_perm:[0,0,0,0] row_mask:0xf bank_mask:0xf// 00000002D2DC: 0BE140FA FF0000FC
	v_mul_f32_dpp v241, v252, v161 quad_perm:[1,1,1,1] row_mask:0xf bank_mask:0xf// 00000002D2E4: 0BE342FA FF0055FC
	v_mul_f32_dpp v242, v252, v162 quad_perm:[2,2,2,2] row_mask:0xf bank_mask:0xf// 00000002D2EC: 0BE544FA FF00AAFC
	v_mul_f32_dpp v243, v252, v163 quad_perm:[3,3,3,3] row_mask:0xf bank_mask:0xf// 00000002D2F4: 0BE746FA FF00FFFC
	v_mul_f32_dpp v244, v253, v164 quad_perm:[0,0,0,0] row_mask:0xf bank_mask:0xf// 00000002D2FC: 0BE948FA FF0000FD
	v_mul_f32_dpp v245, v253, v165 quad_perm:[1,1,1,1] row_mask:0xf bank_mask:0xf// 00000002D304: 0BEB4AFA FF0055FD
	v_mul_f32_dpp v246, v253, v166 quad_perm:[2,2,2,2] row_mask:0xf bank_mask:0xf// 00000002D30C: 0BED4CFA FF00AAFD
	v_mul_f32_dpp v247, v253, v167 quad_perm:[3,3,3,3] row_mask:0xf bank_mask:0xf// 00000002D314: 0BEF4EFA FF00FFFD
	v_mul_f32_dpp v248, v254, v168 quad_perm:[0,0,0,0] row_mask:0xf bank_mask:0xf// 00000002D31C: 0BF150FA FF0000FE
	v_mul_f32_dpp v249, v254, v169 quad_perm:[1,1,1,1] row_mask:0xf bank_mask:0xf// 00000002D324: 0BF352FA FF0055FE
	v_mul_f32_dpp v250, v254, v170 quad_perm:[2,2,2,2] row_mask:0xf bank_mask:0xf// 00000002D32C: 0BF554FA FF00AAFE
	v_mul_f32_dpp v251, v254, v171 quad_perm:[3,3,3,3] row_mask:0xf bank_mask:0xf// 00000002D334: 0BF756FA FF00FFFE
	v_mul_f32_dpp v252, v255, v172 quad_perm:[0,0,0,0] row_mask:0xf bank_mask:0xf// 00000002D33C: 0BF958FA FF0000FF
	v_mul_f32_dpp v253, v255, v173 quad_perm:[1,1,1,1] row_mask:0xf bank_mask:0xf// 00000002D344: 0BFB5AFA FF0055FF
	v_mul_f32_dpp v254, v255, v174 quad_perm:[2,2,2,2] row_mask:0xf bank_mask:0xf// 00000002D34C: 0BFD5CFA FF00AAFF
	v_mul_f32_dpp v255, v255, v175 quad_perm:[3,3,3,3] row_mask:0xf bank_mask:0xf// 00000002D354: 0BFF5EFA FF00FFFF
	v_mov_b32_e32 v48, 0x358637bd                              // 00000002D35C: 7E6002FF 358637BD
	v_max3_f32 v48, |v240|, |v241|, v48                        // 00000002D364: D1D30330 04C3E3F0
	v_max3_f32 v48, |v242|, |v243|, v48                        // 00000002D36C: D1D30330 04C3E7F2
	v_max3_f32 v48, |v244|, |v245|, v48                        // 00000002D374: D1D30330 04C3EBF4
	v_max3_f32 v48, |v246|, |v247|, v48                        // 00000002D37C: D1D30330 04C3EFF6
	v_max3_f32 v48, |v248|, |v249|, v48                        // 00000002D384: D1D30330 04C3F3F8
	v_max3_f32 v48, |v250|, |v251|, v48                        // 00000002D38C: D1D30330 04C3F7FA
	v_max3_f32 v48, |v252|, |v253|, v48                        // 00000002D394: D1D30330 04C3FBFC
	v_max3_f32 v48, |v254|, |v255|, v48                        // 00000002D39C: D1D30330 04C3FFFE
	ds_write_b32 v8, v48 offset:20992                          // 00000002D3A4: D81A5200 00003008
	v_sub_f32_e32 v52, v14, v15                                // 00000002D3AC: 04681F0E
	v_cndmask_b32_e64 v52, v52, 0, s[40:41]                    // 00000002D3B0: D1000034 00A10134
	v_mov_b32_e32 v14, v15                                     // 00000002D3B8: 7E1C030F
	v_mul_f32_e32 v52, s64, v52                                // 00000002D3BC: 0A686840
	v_exp_f32_e32 v52, v52                                     // 00000002D3C0: 7E684134
	s_waitcnt lgkmcnt(0)                                       // 00000002D3C4: BF8CC07F
	s_barrier                                                  // 00000002D3C8: BF8A0000
	ds_read_b32 v64, v7 offset:20992                           // 00000002D3CC: D86C5200 40000007
	ds_read_b32 v65, v7 offset:21056                           // 00000002D3D4: D86C5240 41000007
	ds_read_b32 v66, v7 offset:21120                           // 00000002D3DC: D86C5280 42000007
	ds_read_b32 v67, v7 offset:21184                           // 00000002D3E4: D86C52C0 43000007
	ds_read_b32 v68, v7 offset:21248                           // 00000002D3EC: D86C5300 44000007
	ds_read_b32 v69, v7 offset:21312                           // 00000002D3F4: D86C5340 45000007
	ds_read_b32 v70, v7 offset:21376                           // 00000002D3FC: D86C5380 46000007
	ds_read_b32 v71, v7 offset:21440                           // 00000002D404: D86C53C0 47000007
	ds_read_b32 v72, v7 offset:21504                           // 00000002D40C: D86C5400 48000007
	ds_read_b32 v73, v7 offset:21568                           // 00000002D414: D86C5440 49000007
	ds_read_b32 v74, v7 offset:21632                           // 00000002D41C: D86C5480 4A000007
	ds_read_b32 v75, v7 offset:21696                           // 00000002D424: D86C54C0 4B000007
	ds_read_b32 v76, v7 offset:21760                           // 00000002D42C: D86C5500 4C000007
	ds_read_b32 v77, v7 offset:21824                           // 00000002D434: D86C5540 4D000007
	ds_read_b32 v78, v7 offset:21888                           // 00000002D43C: D86C5580 4E000007
	ds_read_b32 v79, v7 offset:21952                           // 00000002D444: D86C55C0 4F000007
	v_mul_f32_e32 v41, v52, v41                                // 00000002D44C: 0A525334
	v_mov_b32_e32 v15, v160                                    // 00000002D450: 7E1E03A0
	v_add_f32_e32 v15, v161, v15                               // 00000002D454: 021E1FA1
	v_add_f32_e32 v15, v162, v15                               // 00000002D458: 021E1FA2
	v_add_f32_e32 v15, v163, v15                               // 00000002D45C: 021E1FA3
	v_add_f32_e32 v15, v164, v15                               // 00000002D460: 021E1FA4
	v_add_f32_e32 v15, v165, v15                               // 00000002D464: 021E1FA5
	v_add_f32_e32 v15, v166, v15                               // 00000002D468: 021E1FA6
	v_add_f32_e32 v15, v167, v15                               // 00000002D46C: 021E1FA7
	v_add_f32_e32 v15, v168, v15                               // 00000002D470: 021E1FA8
	v_add_f32_e32 v15, v169, v15                               // 00000002D474: 021E1FA9
	v_add_f32_e32 v15, v170, v15                               // 00000002D478: 021E1FAA
	v_add_f32_e32 v15, v171, v15                               // 00000002D47C: 021E1FAB
	v_add_f32_e32 v15, v172, v15                               // 00000002D480: 021E1FAC
	v_add_f32_e32 v15, v173, v15                               // 00000002D484: 021E1FAD
	v_add_f32_e32 v15, v174, v15                               // 00000002D488: 021E1FAE
	v_add_f32_e32 v15, v175, v15                               // 00000002D48C: 021E1FAF
	v_add_f32_e32 v41, v15, v41                                // 00000002D490: 0252530F
	s_waitcnt lgkmcnt(0)                                       // 00000002D494: BF8CC07F
	v_max3_f32 v48, |v64|, |v65|, v48                          // 00000002D498: D1D30330 04C28340
	v_max3_f32 v48, |v66|, |v67|, v48                          // 00000002D4A0: D1D30330 04C28742
	v_max3_f32 v48, |v68|, |v69|, v48                          // 00000002D4A8: D1D30330 04C28B44
	v_max3_f32 v48, |v70|, |v71|, v48                          // 00000002D4B0: D1D30330 04C28F46
	v_max3_f32 v48, |v72|, |v73|, v48                          // 00000002D4B8: D1D30330 04C29348
	v_max3_f32 v48, |v74|, |v75|, v48                          // 00000002D4C0: D1D30330 04C2974A
	v_max3_f32 v48, |v76|, |v77|, v48                          // 00000002D4C8: D1D30330 04C29B4C
	v_max3_f32 v48, |v78|, |v79|, v48                          // 00000002D4D0: D1D30330 04C29F4E
	s_nop 2                                                    // 00000002D4D8: BF800002
	v_rcp_f32_e32 v48, v48                                     // 00000002D4DC: 7E604530
	s_nop 1                                                    // 00000002D4E0: BF800001
	v_mul_f32_e32 v48, 0x43700000, v48                         // 00000002D4E4: 0A6060FF 43700000
	v_mul_f32_e32 v160, v48, v240                              // 00000002D4EC: 0B41E130
	v_mul_f32_e32 v161, v48, v241                              // 00000002D4F0: 0B43E330
	v_mul_f32_e32 v162, v48, v242                              // 00000002D4F4: 0B45E530
	v_mul_f32_e32 v163, v48, v243                              // 00000002D4F8: 0B47E730
	v_mul_f32_e32 v164, v48, v244                              // 00000002D4FC: 0B49E930
	v_mul_f32_e32 v165, v48, v245                              // 00000002D500: 0B4BEB30
	v_mul_f32_e32 v166, v48, v246                              // 00000002D504: 0B4DED30
	v_mul_f32_e32 v167, v48, v247                              // 00000002D508: 0B4FEF30
	v_mul_f32_e32 v168, v48, v248                              // 00000002D50C: 0B51F130
	v_mul_f32_e32 v169, v48, v249                              // 00000002D510: 0B53F330
	v_mul_f32_e32 v170, v48, v250                              // 00000002D514: 0B55F530
	v_mul_f32_e32 v171, v48, v251                              // 00000002D518: 0B57F730
	v_mul_f32_e32 v172, v48, v252                              // 00000002D51C: 0B59F930
	v_mul_f32_e32 v173, v48, v253                              // 00000002D520: 0B5BFB30
	v_mul_f32_e32 v174, v48, v254                              // 00000002D524: 0B5DFD30
	v_mul_f32_e32 v175, v48, v255                              // 00000002D528: 0B5FFF30
	v_cvt_pk_fp8_f32 v160, v160, v161                          // 00000002D52C: D2A200A0 000343A0
	v_cvt_pk_fp8_f32 v160, v162, v163 op_sel:[0,0,1]           // 00000002D534: D2A240A0 000347A2
	v_cvt_pk_fp8_f32 v161, v164, v165                          // 00000002D53C: D2A200A1 00034BA4
	v_cvt_pk_fp8_f32 v161, v166, v167 op_sel:[0,0,1]           // 00000002D544: D2A240A1 00034FA6
	v_cvt_pk_fp8_f32 v162, v168, v169                          // 00000002D54C: D2A200A2 000353A8
	v_cvt_pk_fp8_f32 v162, v170, v171 op_sel:[0,0,1]           // 00000002D554: D2A240A2 000357AA
	v_cvt_pk_fp8_f32 v163, v172, v173                          // 00000002D55C: D2A200A3 00035BAC
	v_cvt_pk_fp8_f32 v163, v174, v175 op_sel:[0,0,1]           // 00000002D564: D2A240A3 00035FAE
	ds_write_b32 v10, v160 offset:37376                        // 00000002D56C: D81A9200 0000A00A
	ds_write_b32 v10, v161 offset:38400                        // 00000002D574: D81A9600 0000A10A
	ds_write_b32 v10, v162 offset:39424                        // 00000002D57C: D81A9A00 0000A20A
	ds_write_b32 v10, v163 offset:40448                        // 00000002D584: D81A9E00 0000A30A
	v_add_f32_e32 v232, v232, v200                             // 00000002D58C: 03D191E8
	v_add_f32_e32 v233, v233, v201                             // 00000002D590: 03D393E9
	v_add_f32_e32 v234, v234, v202                             // 00000002D594: 03D595EA
	v_add_f32_e32 v235, v235, v203                             // 00000002D598: 03D797EB
	v_add_f32_e32 v236, v236, v204                             // 00000002D59C: 03D999EC
	v_add_f32_e32 v237, v237, v205                             // 00000002D5A0: 03DB9BED
	v_add_f32_e32 v238, v238, v206                             // 00000002D5A4: 03DD9DEE
	v_add_f32_e32 v239, v239, v207                             // 00000002D5A8: 03DF9FEF
	v_rcp_f32_e32 v47, v48                                     // 00000002D5AC: 7E5E4530
	s_waitcnt lgkmcnt(0)                                       // 00000002D5B0: BF8CC07F
	s_barrier                                                  // 00000002D5B4: BF8A0000
	ds_read_b64 v[160:161], v9 offset:37376                    // 00000002D5B8: D8EC9200 A0000009
	ds_read_b64 v[162:163], v9 offset:37504                    // 00000002D5C0: D8EC9280 A2000009
	ds_read_b64 v[164:165], v9 offset:38400                    // 00000002D5C8: D8EC9600 A4000009
	ds_read_b64 v[166:167], v9 offset:38528                    // 00000002D5D0: D8EC9680 A6000009
	ds_read_b64 v[168:169], v9 offset:39424                    // 00000002D5D8: D8EC9A00 A8000009
	ds_read_b64 v[170:171], v9 offset:39552                    // 00000002D5E0: D8EC9A80 AA000009
	ds_read_b64 v[172:173], v9 offset:40448                    // 00000002D5E8: D8EC9E00 AC000009
	ds_read_b64 v[174:175], v9 offset:40576                    // 00000002D5F0: D8EC9E80 AE000009
	s_waitcnt vmcnt(0)                                         // 00000002D5F8: BF8C0F70
	s_barrier                                                  // 00000002D5FC: BF8A0000
	v_mfma_f32_16x16x32_fp8_fp8 v[176:179], a[96:97], v[112:113], 0// 00000002D600: D3F300B0 0A02E160
	v_mfma_f32_16x16x32_fp8_fp8 v[176:179], a[98:99], v[114:115], v[176:179]// 00000002D608: D3F300B0 0EC2E562
	v_mfma_f32_16x16x32_fp8_fp8 v[176:179], a[100:101], v[116:117], v[176:179]// 00000002D610: D3F300B0 0EC2E964
	v_mfma_f32_16x16x32_fp8_fp8 v[176:179], a[102:103], v[118:119], v[176:179]// 00000002D618: D3F300B0 0EC2ED66
	v_mfma_f32_16x16x32_fp8_fp8 v[176:179], a[104:105], v[120:121], v[176:179]// 00000002D620: D3F300B0 0EC2F168
	v_mfma_f32_16x16x32_fp8_fp8 v[176:179], a[106:107], v[122:123], v[176:179]// 00000002D628: D3F300B0 0EC2F56A
	v_mfma_f32_16x16x32_fp8_fp8 v[176:179], a[108:109], v[124:125], v[176:179]// 00000002D630: D3F300B0 0EC2F96C
	v_mfma_f32_16x16x32_fp8_fp8 v[176:179], a[110:111], v[126:127], v[176:179]// 00000002D638: D3F300B0 0EC2FD6E
	v_mfma_f32_16x16x32_fp8_fp8 v[180:183], a[112:113], v[112:113], 0// 00000002D640: D3F300B4 0A02E170
	v_mfma_f32_16x16x32_fp8_fp8 v[180:183], a[114:115], v[114:115], v[180:183]// 00000002D648: D3F300B4 0ED2E572
	v_mfma_f32_16x16x32_fp8_fp8 v[180:183], a[116:117], v[116:117], v[180:183]// 00000002D650: D3F300B4 0ED2E974
	v_mfma_f32_16x16x32_fp8_fp8 v[180:183], a[118:119], v[118:119], v[180:183]// 00000002D658: D3F300B4 0ED2ED76
	v_mfma_f32_16x16x32_fp8_fp8 v[180:183], a[120:121], v[120:121], v[180:183]// 00000002D660: D3F300B4 0ED2F178
	v_mfma_f32_16x16x32_fp8_fp8 v[180:183], a[122:123], v[122:123], v[180:183]// 00000002D668: D3F300B4 0ED2F57A
	v_mfma_f32_16x16x32_fp8_fp8 v[180:183], a[124:125], v[124:125], v[180:183]// 00000002D670: D3F300B4 0ED2F97C
	v_mfma_f32_16x16x32_fp8_fp8 v[180:183], a[126:127], v[126:127], v[180:183]// 00000002D678: D3F300B4 0ED2FD7E
	v_mfma_f32_16x16x32_fp8_fp8 v[184:187], a[96:97], v[128:129], 0// 00000002D680: D3F300B8 0A030160
	v_mfma_f32_16x16x32_fp8_fp8 v[184:187], a[98:99], v[130:131], v[184:187]// 00000002D688: D3F300B8 0EE30562
	v_mfma_f32_16x16x32_fp8_fp8 v[184:187], a[100:101], v[132:133], v[184:187]// 00000002D690: D3F300B8 0EE30964
	v_mfma_f32_16x16x32_fp8_fp8 v[184:187], a[102:103], v[134:135], v[184:187]// 00000002D698: D3F300B8 0EE30D66
	v_mfma_f32_16x16x32_fp8_fp8 v[184:187], a[104:105], v[136:137], v[184:187]// 00000002D6A0: D3F300B8 0EE31168
	v_mfma_f32_16x16x32_fp8_fp8 v[184:187], a[106:107], v[138:139], v[184:187]// 00000002D6A8: D3F300B8 0EE3156A
	v_mfma_f32_16x16x32_fp8_fp8 v[184:187], a[108:109], v[140:141], v[184:187]// 00000002D6B0: D3F300B8 0EE3196C
	v_mfma_f32_16x16x32_fp8_fp8 v[184:187], a[110:111], v[142:143], v[184:187]// 00000002D6B8: D3F300B8 0EE31D6E
	v_mfma_f32_16x16x32_fp8_fp8 v[188:191], a[112:113], v[128:129], 0// 00000002D6C0: D3F300BC 0A030170
	v_mfma_f32_16x16x32_fp8_fp8 v[188:191], a[114:115], v[130:131], v[188:191]// 00000002D6C8: D3F300BC 0EF30572
	v_mfma_f32_16x16x32_fp8_fp8 v[188:191], a[116:117], v[132:133], v[188:191]// 00000002D6D0: D3F300BC 0EF30974
	v_mfma_f32_16x16x32_fp8_fp8 v[188:191], a[118:119], v[134:135], v[188:191]// 00000002D6D8: D3F300BC 0EF30D76
	v_mfma_f32_16x16x32_fp8_fp8 v[188:191], a[120:121], v[136:137], v[188:191]// 00000002D6E0: D3F300BC 0EF31178
	v_mfma_f32_16x16x32_fp8_fp8 v[188:191], a[122:123], v[138:139], v[188:191]// 00000002D6E8: D3F300BC 0EF3157A
	v_mfma_f32_16x16x32_fp8_fp8 v[188:191], a[124:125], v[140:141], v[188:191]// 00000002D6F0: D3F300BC 0EF3197C
	v_mfma_f32_16x16x32_fp8_fp8 v[188:191], a[126:127], v[142:143], v[188:191]// 00000002D6F8: D3F300BC 0EF31D7E
	v_mfma_f32_16x16x32_fp8_fp8 v[192:195], a[96:97], v[144:145], 0// 00000002D700: D3F300C0 0A032160
	v_mfma_f32_16x16x32_fp8_fp8 v[192:195], a[98:99], v[146:147], v[192:195]// 00000002D708: D3F300C0 0F032562
	v_mfma_f32_16x16x32_fp8_fp8 v[192:195], a[100:101], v[148:149], v[192:195]// 00000002D710: D3F300C0 0F032964
	v_mfma_f32_16x16x32_fp8_fp8 v[192:195], a[102:103], v[150:151], v[192:195]// 00000002D718: D3F300C0 0F032D66
	v_mfma_f32_16x16x32_fp8_fp8 v[192:195], a[104:105], v[152:153], v[192:195]// 00000002D720: D3F300C0 0F033168
	v_mfma_f32_16x16x32_fp8_fp8 v[192:195], a[106:107], v[154:155], v[192:195]// 00000002D728: D3F300C0 0F03356A
	v_mfma_f32_16x16x32_fp8_fp8 v[192:195], a[108:109], v[156:157], v[192:195]// 00000002D730: D3F300C0 0F03396C
	v_mfma_f32_16x16x32_fp8_fp8 v[192:195], a[110:111], v[158:159], v[192:195]// 00000002D738: D3F300C0 0F033D6E
	v_mfma_f32_16x16x32_fp8_fp8 v[196:199], a[112:113], v[144:145], 0// 00000002D740: D3F300C4 0A032170
	v_mfma_f32_16x16x32_fp8_fp8 v[196:199], a[114:115], v[146:147], v[196:199]// 00000002D748: D3F300C4 0F132572
	v_mfma_f32_16x16x32_fp8_fp8 v[196:199], a[116:117], v[148:149], v[196:199]// 00000002D750: D3F300C4 0F132974
	v_mfma_f32_16x16x32_fp8_fp8 v[196:199], a[118:119], v[150:151], v[196:199]// 00000002D758: D3F300C4 0F132D76
	v_mfma_f32_16x16x32_fp8_fp8 v[196:199], a[120:121], v[152:153], v[196:199]// 00000002D760: D3F300C4 0F133178
	v_mfma_f32_16x16x32_fp8_fp8 v[196:199], a[122:123], v[154:155], v[196:199]// 00000002D768: D3F300C4 0F13357A
	v_mfma_f32_16x16x32_fp8_fp8 v[196:199], a[124:125], v[156:157], v[196:199]// 00000002D770: D3F300C4 0F13397C
	v_mfma_f32_16x16x32_fp8_fp8 v[196:199], a[126:127], v[158:159], v[196:199]// 00000002D778: D3F300C4 0F133D7E
	v_mfma_f32_16x16x32_fp8_fp8 v[200:203], a[96:97], v[160:161], 0// 00000002D780: D3F300C8 0A034160
	v_mfma_f32_16x16x32_fp8_fp8 v[200:203], a[98:99], v[162:163], v[200:203]// 00000002D788: D3F300C8 0F234562
	v_mfma_f32_16x16x32_fp8_fp8 v[200:203], a[100:101], v[164:165], v[200:203]// 00000002D790: D3F300C8 0F234964
	v_mfma_f32_16x16x32_fp8_fp8 v[200:203], a[102:103], v[166:167], v[200:203]// 00000002D798: D3F300C8 0F234D66
	v_mfma_f32_16x16x32_fp8_fp8 v[200:203], a[104:105], v[168:169], v[200:203]// 00000002D7A0: D3F300C8 0F235168
	v_mfma_f32_16x16x32_fp8_fp8 v[200:203], a[106:107], v[170:171], v[200:203]// 00000002D7A8: D3F300C8 0F23556A
	v_mfma_f32_16x16x32_fp8_fp8 v[200:203], a[108:109], v[172:173], v[200:203]// 00000002D7B0: D3F300C8 0F23596C
	v_mfma_f32_16x16x32_fp8_fp8 v[200:203], a[110:111], v[174:175], v[200:203]// 00000002D7B8: D3F300C8 0F235D6E
	v_mfma_f32_16x16x32_fp8_fp8 v[204:207], a[112:113], v[160:161], 0// 00000002D7C0: D3F300CC 0A034170
	v_mfma_f32_16x16x32_fp8_fp8 v[204:207], a[114:115], v[162:163], v[204:207]// 00000002D7C8: D3F300CC 0F334572
	v_mfma_f32_16x16x32_fp8_fp8 v[204:207], a[116:117], v[164:165], v[204:207]// 00000002D7D0: D3F300CC 0F334974
	v_mfma_f32_16x16x32_fp8_fp8 v[204:207], a[118:119], v[166:167], v[204:207]// 00000002D7D8: D3F300CC 0F334D76
	v_mfma_f32_16x16x32_fp8_fp8 v[204:207], a[120:121], v[168:169], v[204:207]// 00000002D7E0: D3F300CC 0F335178
	v_mfma_f32_16x16x32_fp8_fp8 v[204:207], a[122:123], v[170:171], v[204:207]// 00000002D7E8: D3F300CC 0F33557A
	v_mfma_f32_16x16x32_fp8_fp8 v[204:207], a[124:125], v[172:173], v[204:207]// 00000002D7F0: D3F300CC 0F33597C
	v_mfma_f32_16x16x32_fp8_fp8 v[204:207], a[126:127], v[174:175], v[204:207]// 00000002D7F8: D3F300CC 0F335D7E
	s_nop 4                                                    // 00000002D800: BF800004
	s_branch label_AD82                                        // 00000002D804: BF820000

000000000002d808 <label_AD82>:
	v_mul_f32_e32 v208, v49, v208                              // 00000002D808: 0BA1A131
	v_mul_f32_e32 v209, v49, v209                              // 00000002D80C: 0BA3A331
	v_mul_f32_e32 v210, v49, v210                              // 00000002D810: 0BA5A531
	v_mul_f32_e32 v211, v49, v211                              // 00000002D814: 0BA7A731
	v_mul_f32_e32 v212, v49, v212                              // 00000002D818: 0BA9A931
	v_mul_f32_e32 v213, v49, v213                              // 00000002D81C: 0BABAB31
	v_mul_f32_e32 v214, v49, v214                              // 00000002D820: 0BADAD31
	v_mul_f32_e32 v215, v49, v215                              // 00000002D824: 0BAFAF31
	v_mul_f32_e32 v176, v44, v176                              // 00000002D828: 0B61612C
	v_mul_f32_e32 v177, v44, v177                              // 00000002D82C: 0B63632C
	v_mul_f32_e32 v178, v44, v178                              // 00000002D830: 0B65652C
	v_mul_f32_e32 v179, v44, v179                              // 00000002D834: 0B67672C
	v_mul_f32_e32 v180, v44, v180                              // 00000002D838: 0B69692C
	v_mul_f32_e32 v181, v44, v181                              // 00000002D83C: 0B6B6B2C
	v_mul_f32_e32 v182, v44, v182                              // 00000002D840: 0B6D6D2C
	v_mul_f32_e32 v183, v44, v183                              // 00000002D844: 0B6F6F2C
	v_add_f32_e32 v208, v208, v176                             // 00000002D848: 03A161D0
	v_add_f32_e32 v209, v209, v177                             // 00000002D84C: 03A363D1
	v_add_f32_e32 v210, v210, v178                             // 00000002D850: 03A565D2
	v_add_f32_e32 v211, v211, v179                             // 00000002D854: 03A767D3
	v_add_f32_e32 v212, v212, v180                             // 00000002D858: 03A969D4
	v_add_f32_e32 v213, v213, v181                             // 00000002D85C: 03AB6BD5
	v_add_f32_e32 v214, v214, v182                             // 00000002D860: 03AD6DD6
	v_add_f32_e32 v215, v215, v183                             // 00000002D864: 03AF6FD7
	ds_write_b32 v8, v38 offset:16896                          // 00000002D868: D81A4200 00002608
	s_waitcnt lgkmcnt(0)                                       // 00000002D870: BF8CC07F
	s_barrier                                                  // 00000002D874: BF8A0000
	ds_read_b32 v64, v7 offset:16896                           // 00000002D878: D86C4200 40000007
	ds_read_b32 v65, v7 offset:16960                           // 00000002D880: D86C4240 41000007
	ds_read_b32 v66, v7 offset:17024                           // 00000002D888: D86C4280 42000007
	ds_read_b32 v67, v7 offset:17088                           // 00000002D890: D86C42C0 43000007
	ds_read_b32 v68, v7 offset:17152                           // 00000002D898: D86C4300 44000007
	ds_read_b32 v69, v7 offset:17216                           // 00000002D8A0: D86C4340 45000007
	ds_read_b32 v70, v7 offset:17280                           // 00000002D8A8: D86C4380 46000007
	ds_read_b32 v71, v7 offset:17344                           // 00000002D8B0: D86C43C0 47000007
	ds_read_b32 v72, v7 offset:17408                           // 00000002D8B8: D86C4400 48000007
	ds_read_b32 v73, v7 offset:17472                           // 00000002D8C0: D86C4440 49000007
	ds_read_b32 v74, v7 offset:17536                           // 00000002D8C8: D86C4480 4A000007
	ds_read_b32 v75, v7 offset:17600                           // 00000002D8D0: D86C44C0 4B000007
	ds_read_b32 v76, v7 offset:17664                           // 00000002D8D8: D86C4500 4C000007
	ds_read_b32 v77, v7 offset:17728                           // 00000002D8E0: D86C4540 4D000007
	ds_read_b32 v78, v7 offset:17792                           // 00000002D8E8: D86C4580 4E000007
	ds_read_b32 v79, v7 offset:17856                           // 00000002D8F0: D86C45C0 4F000007
	s_waitcnt lgkmcnt(0)                                       // 00000002D8F8: BF8CC07F
	v_mov_b32_e32 v38, 0                                       // 00000002D8FC: 7E4C0280
	v_add_f32_e32 v38, v64, v38                                // 00000002D900: 024C4D40
	v_add_f32_e32 v38, v65, v38                                // 00000002D904: 024C4D41
	v_add_f32_e32 v38, v66, v38                                // 00000002D908: 024C4D42
	v_add_f32_e32 v38, v67, v38                                // 00000002D90C: 024C4D43
	v_add_f32_e32 v38, v68, v38                                // 00000002D910: 024C4D44
	v_add_f32_e32 v38, v69, v38                                // 00000002D914: 024C4D45
	v_add_f32_e32 v38, v70, v38                                // 00000002D918: 024C4D46
	v_add_f32_e32 v38, v71, v38                                // 00000002D91C: 024C4D47
	v_add_f32_e32 v38, v72, v38                                // 00000002D920: 024C4D48
	v_add_f32_e32 v38, v73, v38                                // 00000002D924: 024C4D49
	v_add_f32_e32 v38, v74, v38                                // 00000002D928: 024C4D4A
	v_add_f32_e32 v38, v75, v38                                // 00000002D92C: 024C4D4B
	v_add_f32_e32 v38, v76, v38                                // 00000002D930: 024C4D4C
	v_add_f32_e32 v38, v77, v38                                // 00000002D934: 024C4D4D
	v_add_f32_e32 v38, v78, v38                                // 00000002D938: 024C4D4E
	v_add_f32_e32 v38, v79, v38                                // 00000002D93C: 024C4D4F
	s_nop 1                                                    // 00000002D940: BF800001
	v_rcp_f32_e32 v38, v38                                     // 00000002D944: 7E4C4526
	s_nop 1                                                    // 00000002D948: BF800001
	v_mul_f32_e32 v208, v38, v208                              // 00000002D94C: 0BA1A126
	v_mul_f32_e32 v209, v38, v209                              // 00000002D950: 0BA3A326
	v_mul_f32_e32 v210, v38, v210                              // 00000002D954: 0BA5A526
	v_mul_f32_e32 v211, v38, v211                              // 00000002D958: 0BA7A726
	v_mul_f32_e32 v212, v38, v212                              // 00000002D95C: 0BA9A926
	v_mul_f32_e32 v213, v38, v213                              // 00000002D960: 0BABAB26
	v_mul_f32_e32 v214, v38, v214                              // 00000002D964: 0BADAD26
	v_mul_f32_e32 v215, v38, v215                              // 00000002D968: 0BAFAF26
	v_mov_b32_e32 v19, 0xffff0000                              // 00000002D96C: 7E2602FF FFFF0000
	v_mov_b32_e32 v20, 0x7fff0000                              // 00000002D974: 7E2802FF 7FFF0000
	v_mov_b32_e32 v21, 0x7fff                                  // 00000002D97C: 7E2A02FF 00007FFF
	v_cvt_pkrtz_f16_f32 v64, v208, v209                        // 00000002D984: D2960040 0003A3D0
	v_mov_b32_e32 v208, v64                                    // 00000002D98C: 7FA00340
	v_cvt_pkrtz_f16_f32 v64, v210, v211                        // 00000002D990: D2960040 0003A7D2
	v_mov_b32_e32 v209, v64                                    // 00000002D998: 7FA20340
	v_cvt_pkrtz_f16_f32 v64, v212, v213                        // 00000002D99C: D2960040 0003ABD4
	v_mov_b32_e32 v210, v64                                    // 00000002D9A4: 7FA40340
	v_cvt_pkrtz_f16_f32 v64, v214, v215                        // 00000002D9A8: D2960040 0003AFD6
	v_mov_b32_e32 v211, v64                                    // 00000002D9B0: 7FA60340
	s_nop 1                                                    // 00000002D9B4: BF800001
	v_lshrrev_b32_e32 v64, 4, v0                               // 00000002D9B8: 20800084
	v_mul_i32_i24_e32 v68, 34, v64                             // 00000002D9BC: 0C8880A2
	v_and_b32_e32 v64, 15, v0                                  // 00000002D9C0: 2680008F
	v_mul_i32_i24_e32 v65, 2, v64                              // 00000002D9C4: 0C828082
	v_add_u32_e32 v68, v65, v68                                // 00000002D9C8: 68888941
	s_mul_i32 s60, s7, 0x88                                    // 00000002D9CC: 923CFF07 00000088
	v_add_u32_e32 v68, s60, v68                                // 00000002D9D4: 6888883C
	v_lshlrev_b32_e32 v68, 2, v68                              // 00000002D9D8: 24888882
	ds_write_b64 v68, v[208:209] offset:41472                  // 00000002D9DC: D89AA200 0000D044
	ds_write_b64 v68, v[210:211] offset:43648                  // 00000002D9E4: D89AAA80 0000D244
	v_lshrrev_b32_e32 v64, 1, v0                               // 00000002D9EC: 20800081
	v_mul_i32_i24_e32 v68, 34, v64                             // 00000002D9F0: 0C8880A2
	v_and_b32_e32 v65, 1, v0                                   // 00000002D9F4: 26820081
	v_add_u32_e32 v68, v65, v68                                // 00000002D9F8: 68888941
	s_mul_i32 s60, s7, 2                                       // 00000002D9FC: 923C8207
	v_add_u32_e32 v68, s60, v68                                // 00000002DA00: 6888883C
	v_lshlrev_b32_e32 v68, 2, v68                              // 00000002DA04: 24888882
	s_waitcnt lgkmcnt(0)                                       // 00000002DA08: BF8CC07F
	s_barrier                                                  // 00000002DA0C: BF8A0000
	ds_read_b32 v208, v68 offset:41472                         // 00000002DA10: D86CA200 D0000044
	ds_read_b32 v209, v68 offset:41504                         // 00000002DA18: D86CA220 D1000044
	ds_read_b32 v210, v68 offset:41536                         // 00000002DA20: D86CA240 D2000044
	ds_read_b32 v211, v68 offset:41568                         // 00000002DA28: D86CA260 D3000044
	s_mul_i32 s60, s7, 0x100                                   // 00000002DA30: 923CFF07 00000100
	v_lshlrev_b32_e32 v64, 2, v0                               // 00000002DA38: 24800082
	v_add_u32_e64 v64, v64, s60                                // 00000002DA3C: D1340040 00007940
	s_waitcnt lgkmcnt(0)                                       // 00000002DA44: BF8CC07F
	buffer_store_dword v208, v64, s[8:11], 0 offen             // 00000002DA48: E0701000 8002D040
	buffer_store_dword v209, v64, s[8:11], 0 offen offset:1024 // 00000002DA50: E0701400 8002D140
	buffer_store_dword v210, v64, s[8:11], 0 offen offset:2048 // 00000002DA58: E0701800 8002D240
	buffer_store_dword v211, v64, s[8:11], 0 offen offset:3072 // 00000002DA60: E0701C00 8002D340
	s_add_u32 s8, s75, s8                                      // 00000002DA68: 8008084B
	s_addc_u32 s9, 0, s9                                       // 00000002DA6C: 82090980
	v_mul_f32_e32 v216, v50, v216                              // 00000002DA70: 0BB1B132
	v_mul_f32_e32 v217, v50, v217                              // 00000002DA74: 0BB3B332
	v_mul_f32_e32 v218, v50, v218                              // 00000002DA78: 0BB5B532
	v_mul_f32_e32 v219, v50, v219                              // 00000002DA7C: 0BB7B732
	v_mul_f32_e32 v220, v50, v220                              // 00000002DA80: 0BB9B932
	v_mul_f32_e32 v221, v50, v221                              // 00000002DA84: 0BBBBB32
	v_mul_f32_e32 v222, v50, v222                              // 00000002DA88: 0BBDBD32
	v_mul_f32_e32 v223, v50, v223                              // 00000002DA8C: 0BBFBF32
	v_mul_f32_e32 v184, v45, v184                              // 00000002DA90: 0B71712D
	v_mul_f32_e32 v185, v45, v185                              // 00000002DA94: 0B73732D
	v_mul_f32_e32 v186, v45, v186                              // 00000002DA98: 0B75752D
	v_mul_f32_e32 v187, v45, v187                              // 00000002DA9C: 0B77772D
	v_mul_f32_e32 v188, v45, v188                              // 00000002DAA0: 0B79792D
	v_mul_f32_e32 v189, v45, v189                              // 00000002DAA4: 0B7B7B2D
	v_mul_f32_e32 v190, v45, v190                              // 00000002DAA8: 0B7D7D2D
	v_mul_f32_e32 v191, v45, v191                              // 00000002DAAC: 0B7F7F2D
	v_add_f32_e32 v216, v216, v184                             // 00000002DAB0: 03B171D8
	v_add_f32_e32 v217, v217, v185                             // 00000002DAB4: 03B373D9
	v_add_f32_e32 v218, v218, v186                             // 00000002DAB8: 03B575DA
	v_add_f32_e32 v219, v219, v187                             // 00000002DABC: 03B777DB
	v_add_f32_e32 v220, v220, v188                             // 00000002DAC0: 03B979DC
	v_add_f32_e32 v221, v221, v189                             // 00000002DAC4: 03BB7BDD
	v_add_f32_e32 v222, v222, v190                             // 00000002DAC8: 03BD7DDE
	v_add_f32_e32 v223, v223, v191                             // 00000002DACC: 03BF7FDF
	ds_write_b32 v8, v39 offset:16896                          // 00000002DAD0: D81A4200 00002708
	s_waitcnt lgkmcnt(0)                                       // 00000002DAD8: BF8CC07F
	s_barrier                                                  // 00000002DADC: BF8A0000
	ds_read_b32 v64, v7 offset:16896                           // 00000002DAE0: D86C4200 40000007
	ds_read_b32 v65, v7 offset:16960                           // 00000002DAE8: D86C4240 41000007
	ds_read_b32 v66, v7 offset:17024                           // 00000002DAF0: D86C4280 42000007
	ds_read_b32 v67, v7 offset:17088                           // 00000002DAF8: D86C42C0 43000007
	ds_read_b32 v68, v7 offset:17152                           // 00000002DB00: D86C4300 44000007
	ds_read_b32 v69, v7 offset:17216                           // 00000002DB08: D86C4340 45000007
	ds_read_b32 v70, v7 offset:17280                           // 00000002DB10: D86C4380 46000007
	ds_read_b32 v71, v7 offset:17344                           // 00000002DB18: D86C43C0 47000007
	ds_read_b32 v72, v7 offset:17408                           // 00000002DB20: D86C4400 48000007
	ds_read_b32 v73, v7 offset:17472                           // 00000002DB28: D86C4440 49000007
	ds_read_b32 v74, v7 offset:17536                           // 00000002DB30: D86C4480 4A000007
	ds_read_b32 v75, v7 offset:17600                           // 00000002DB38: D86C44C0 4B000007
	ds_read_b32 v76, v7 offset:17664                           // 00000002DB40: D86C4500 4C000007
	ds_read_b32 v77, v7 offset:17728                           // 00000002DB48: D86C4540 4D000007
	ds_read_b32 v78, v7 offset:17792                           // 00000002DB50: D86C4580 4E000007
	ds_read_b32 v79, v7 offset:17856                           // 00000002DB58: D86C45C0 4F000007
	s_waitcnt lgkmcnt(0)                                       // 00000002DB60: BF8CC07F
	v_mov_b32_e32 v39, 0                                       // 00000002DB64: 7E4E0280
	v_add_f32_e32 v39, v64, v39                                // 00000002DB68: 024E4F40
	v_add_f32_e32 v39, v65, v39                                // 00000002DB6C: 024E4F41
	v_add_f32_e32 v39, v66, v39                                // 00000002DB70: 024E4F42
	v_add_f32_e32 v39, v67, v39                                // 00000002DB74: 024E4F43
	v_add_f32_e32 v39, v68, v39                                // 00000002DB78: 024E4F44
	v_add_f32_e32 v39, v69, v39                                // 00000002DB7C: 024E4F45
	v_add_f32_e32 v39, v70, v39                                // 00000002DB80: 024E4F46
	v_add_f32_e32 v39, v71, v39                                // 00000002DB84: 024E4F47
	v_add_f32_e32 v39, v72, v39                                // 00000002DB88: 024E4F48
	v_add_f32_e32 v39, v73, v39                                // 00000002DB8C: 024E4F49
	v_add_f32_e32 v39, v74, v39                                // 00000002DB90: 024E4F4A
	v_add_f32_e32 v39, v75, v39                                // 00000002DB94: 024E4F4B
	v_add_f32_e32 v39, v76, v39                                // 00000002DB98: 024E4F4C
	v_add_f32_e32 v39, v77, v39                                // 00000002DB9C: 024E4F4D
	v_add_f32_e32 v39, v78, v39                                // 00000002DBA0: 024E4F4E
	v_add_f32_e32 v39, v79, v39                                // 00000002DBA4: 024E4F4F
	s_nop 1                                                    // 00000002DBA8: BF800001
	v_rcp_f32_e32 v39, v39                                     // 00000002DBAC: 7E4E4527
	s_nop 1                                                    // 00000002DBB0: BF800001
	v_mul_f32_e32 v216, v39, v216                              // 00000002DBB4: 0BB1B127
	v_mul_f32_e32 v217, v39, v217                              // 00000002DBB8: 0BB3B327
	v_mul_f32_e32 v218, v39, v218                              // 00000002DBBC: 0BB5B527
	v_mul_f32_e32 v219, v39, v219                              // 00000002DBC0: 0BB7B727
	v_mul_f32_e32 v220, v39, v220                              // 00000002DBC4: 0BB9B927
	v_mul_f32_e32 v221, v39, v221                              // 00000002DBC8: 0BBBBB27
	v_mul_f32_e32 v222, v39, v222                              // 00000002DBCC: 0BBDBD27
	v_mul_f32_e32 v223, v39, v223                              // 00000002DBD0: 0BBFBF27
	v_mov_b32_e32 v19, 0xffff0000                              // 00000002DBD4: 7E2602FF FFFF0000
	v_mov_b32_e32 v20, 0x7fff0000                              // 00000002DBDC: 7E2802FF 7FFF0000
	v_mov_b32_e32 v21, 0x7fff                                  // 00000002DBE4: 7E2A02FF 00007FFF
	v_cvt_pkrtz_f16_f32 v64, v216, v217                        // 00000002DBEC: D2960040 0003B3D8
	v_mov_b32_e32 v216, v64                                    // 00000002DBF4: 7FB00340
	v_cvt_pkrtz_f16_f32 v64, v218, v219                        // 00000002DBF8: D2960040 0003B7DA
	v_mov_b32_e32 v217, v64                                    // 00000002DC00: 7FB20340
	v_cvt_pkrtz_f16_f32 v64, v220, v221                        // 00000002DC04: D2960040 0003BBDC
	v_mov_b32_e32 v218, v64                                    // 00000002DC0C: 7FB40340
	v_cvt_pkrtz_f16_f32 v64, v222, v223                        // 00000002DC10: D2960040 0003BFDE
	v_mov_b32_e32 v219, v64                                    // 00000002DC18: 7FB60340
	s_nop 1                                                    // 00000002DC1C: BF800001
	v_lshrrev_b32_e32 v64, 4, v0                               // 00000002DC20: 20800084
	v_mul_i32_i24_e32 v68, 34, v64                             // 00000002DC24: 0C8880A2
	v_and_b32_e32 v64, 15, v0                                  // 00000002DC28: 2680008F
	v_mul_i32_i24_e32 v65, 2, v64                              // 00000002DC2C: 0C828082
	v_add_u32_e32 v68, v65, v68                                // 00000002DC30: 68888941
	s_mul_i32 s60, s7, 0x88                                    // 00000002DC34: 923CFF07 00000088
	v_add_u32_e32 v68, s60, v68                                // 00000002DC3C: 6888883C
	v_lshlrev_b32_e32 v68, 2, v68                              // 00000002DC40: 24888882
	ds_write_b64 v68, v[216:217] offset:41472                  // 00000002DC44: D89AA200 0000D844
	ds_write_b64 v68, v[218:219] offset:43648                  // 00000002DC4C: D89AAA80 0000DA44
	v_lshrrev_b32_e32 v64, 1, v0                               // 00000002DC54: 20800081
	v_mul_i32_i24_e32 v68, 34, v64                             // 00000002DC58: 0C8880A2
	v_and_b32_e32 v65, 1, v0                                   // 00000002DC5C: 26820081
	v_add_u32_e32 v68, v65, v68                                // 00000002DC60: 68888941
	s_mul_i32 s60, s7, 2                                       // 00000002DC64: 923C8207
	v_add_u32_e32 v68, s60, v68                                // 00000002DC68: 6888883C
	v_lshlrev_b32_e32 v68, 2, v68                              // 00000002DC6C: 24888882
	s_waitcnt lgkmcnt(0)                                       // 00000002DC70: BF8CC07F
	s_barrier                                                  // 00000002DC74: BF8A0000
	ds_read_b32 v216, v68 offset:41472                         // 00000002DC78: D86CA200 D8000044
	ds_read_b32 v217, v68 offset:41504                         // 00000002DC80: D86CA220 D9000044
	ds_read_b32 v218, v68 offset:41536                         // 00000002DC88: D86CA240 DA000044
	ds_read_b32 v219, v68 offset:41568                         // 00000002DC90: D86CA260 DB000044
	s_mul_i32 s60, s7, 0x100                                   // 00000002DC98: 923CFF07 00000100
	v_lshlrev_b32_e32 v64, 2, v0                               // 00000002DCA0: 24800082
	v_add_u32_e64 v64, v64, s60                                // 00000002DCA4: D1340040 00007940
	s_waitcnt lgkmcnt(0)                                       // 00000002DCAC: BF8CC07F
	buffer_store_dword v216, v64, s[8:11], 0 offen             // 00000002DCB0: E0701000 8002D840
	buffer_store_dword v217, v64, s[8:11], 0 offen offset:1024 // 00000002DCB8: E0701400 8002D940
	buffer_store_dword v218, v64, s[8:11], 0 offen offset:2048 // 00000002DCC0: E0701800 8002DA40
	buffer_store_dword v219, v64, s[8:11], 0 offen offset:3072 // 00000002DCC8: E0701C00 8002DB40
	s_add_u32 s8, s75, s8                                      // 00000002DCD0: 8008084B
	s_addc_u32 s9, 0, s9                                       // 00000002DCD4: 82090980
	v_mul_f32_e32 v224, v51, v224                              // 00000002DCD8: 0BC1C133
	v_mul_f32_e32 v225, v51, v225                              // 00000002DCDC: 0BC3C333
	v_mul_f32_e32 v226, v51, v226                              // 00000002DCE0: 0BC5C533
	v_mul_f32_e32 v227, v51, v227                              // 00000002DCE4: 0BC7C733
	v_mul_f32_e32 v228, v51, v228                              // 00000002DCE8: 0BC9C933
	v_mul_f32_e32 v229, v51, v229                              // 00000002DCEC: 0BCBCB33
	v_mul_f32_e32 v230, v51, v230                              // 00000002DCF0: 0BCDCD33
	v_mul_f32_e32 v231, v51, v231                              // 00000002DCF4: 0BCFCF33
	v_mul_f32_e32 v192, v46, v192                              // 00000002DCF8: 0B81812E
	v_mul_f32_e32 v193, v46, v193                              // 00000002DCFC: 0B83832E
	v_mul_f32_e32 v194, v46, v194                              // 00000002DD00: 0B85852E
	v_mul_f32_e32 v195, v46, v195                              // 00000002DD04: 0B87872E
	v_mul_f32_e32 v196, v46, v196                              // 00000002DD08: 0B89892E
	v_mul_f32_e32 v197, v46, v197                              // 00000002DD0C: 0B8B8B2E
	v_mul_f32_e32 v198, v46, v198                              // 00000002DD10: 0B8D8D2E
	v_mul_f32_e32 v199, v46, v199                              // 00000002DD14: 0B8F8F2E
	v_add_f32_e32 v224, v224, v192                             // 00000002DD18: 03C181E0
	v_add_f32_e32 v225, v225, v193                             // 00000002DD1C: 03C383E1
	v_add_f32_e32 v226, v226, v194                             // 00000002DD20: 03C585E2
	v_add_f32_e32 v227, v227, v195                             // 00000002DD24: 03C787E3
	v_add_f32_e32 v228, v228, v196                             // 00000002DD28: 03C989E4
	v_add_f32_e32 v229, v229, v197                             // 00000002DD2C: 03CB8BE5
	v_add_f32_e32 v230, v230, v198                             // 00000002DD30: 03CD8DE6
	v_add_f32_e32 v231, v231, v199                             // 00000002DD34: 03CF8FE7
	ds_write_b32 v8, v40 offset:16896                          // 00000002DD38: D81A4200 00002808
	s_waitcnt lgkmcnt(0)                                       // 00000002DD40: BF8CC07F
	s_barrier                                                  // 00000002DD44: BF8A0000
	ds_read_b32 v64, v7 offset:16896                           // 00000002DD48: D86C4200 40000007
	ds_read_b32 v65, v7 offset:16960                           // 00000002DD50: D86C4240 41000007
	ds_read_b32 v66, v7 offset:17024                           // 00000002DD58: D86C4280 42000007
	ds_read_b32 v67, v7 offset:17088                           // 00000002DD60: D86C42C0 43000007
	ds_read_b32 v68, v7 offset:17152                           // 00000002DD68: D86C4300 44000007
	ds_read_b32 v69, v7 offset:17216                           // 00000002DD70: D86C4340 45000007
	ds_read_b32 v70, v7 offset:17280                           // 00000002DD78: D86C4380 46000007
	ds_read_b32 v71, v7 offset:17344                           // 00000002DD80: D86C43C0 47000007
	ds_read_b32 v72, v7 offset:17408                           // 00000002DD88: D86C4400 48000007
	ds_read_b32 v73, v7 offset:17472                           // 00000002DD90: D86C4440 49000007
	ds_read_b32 v74, v7 offset:17536                           // 00000002DD98: D86C4480 4A000007
	ds_read_b32 v75, v7 offset:17600                           // 00000002DDA0: D86C44C0 4B000007
	ds_read_b32 v76, v7 offset:17664                           // 00000002DDA8: D86C4500 4C000007
	ds_read_b32 v77, v7 offset:17728                           // 00000002DDB0: D86C4540 4D000007
	ds_read_b32 v78, v7 offset:17792                           // 00000002DDB8: D86C4580 4E000007
	ds_read_b32 v79, v7 offset:17856                           // 00000002DDC0: D86C45C0 4F000007
	s_waitcnt lgkmcnt(0)                                       // 00000002DDC8: BF8CC07F
	v_mov_b32_e32 v40, 0                                       // 00000002DDCC: 7E500280
	v_add_f32_e32 v40, v64, v40                                // 00000002DDD0: 02505140
	v_add_f32_e32 v40, v65, v40                                // 00000002DDD4: 02505141
	v_add_f32_e32 v40, v66, v40                                // 00000002DDD8: 02505142
	v_add_f32_e32 v40, v67, v40                                // 00000002DDDC: 02505143
	v_add_f32_e32 v40, v68, v40                                // 00000002DDE0: 02505144
	v_add_f32_e32 v40, v69, v40                                // 00000002DDE4: 02505145
	v_add_f32_e32 v40, v70, v40                                // 00000002DDE8: 02505146
	v_add_f32_e32 v40, v71, v40                                // 00000002DDEC: 02505147
	v_add_f32_e32 v40, v72, v40                                // 00000002DDF0: 02505148
	v_add_f32_e32 v40, v73, v40                                // 00000002DDF4: 02505149
	v_add_f32_e32 v40, v74, v40                                // 00000002DDF8: 0250514A
	v_add_f32_e32 v40, v75, v40                                // 00000002DDFC: 0250514B
	v_add_f32_e32 v40, v76, v40                                // 00000002DE00: 0250514C
	v_add_f32_e32 v40, v77, v40                                // 00000002DE04: 0250514D
	v_add_f32_e32 v40, v78, v40                                // 00000002DE08: 0250514E
	v_add_f32_e32 v40, v79, v40                                // 00000002DE0C: 0250514F
	s_nop 1                                                    // 00000002DE10: BF800001
	v_rcp_f32_e32 v40, v40                                     // 00000002DE14: 7E504528
	s_nop 1                                                    // 00000002DE18: BF800001
	v_mul_f32_e32 v224, v40, v224                              // 00000002DE1C: 0BC1C128
	v_mul_f32_e32 v225, v40, v225                              // 00000002DE20: 0BC3C328
	v_mul_f32_e32 v226, v40, v226                              // 00000002DE24: 0BC5C528
	v_mul_f32_e32 v227, v40, v227                              // 00000002DE28: 0BC7C728
	v_mul_f32_e32 v228, v40, v228                              // 00000002DE2C: 0BC9C928
	v_mul_f32_e32 v229, v40, v229                              // 00000002DE30: 0BCBCB28
	v_mul_f32_e32 v230, v40, v230                              // 00000002DE34: 0BCDCD28
	v_mul_f32_e32 v231, v40, v231                              // 00000002DE38: 0BCFCF28
	v_mov_b32_e32 v19, 0xffff0000                              // 00000002DE3C: 7E2602FF FFFF0000
	v_mov_b32_e32 v20, 0x7fff0000                              // 00000002DE44: 7E2802FF 7FFF0000
	v_mov_b32_e32 v21, 0x7fff                                  // 00000002DE4C: 7E2A02FF 00007FFF
	v_cvt_pkrtz_f16_f32 v64, v224, v225                        // 00000002DE54: D2960040 0003C3E0
	v_mov_b32_e32 v224, v64                                    // 00000002DE5C: 7FC00340
	v_cvt_pkrtz_f16_f32 v64, v226, v227                        // 00000002DE60: D2960040 0003C7E2
	v_mov_b32_e32 v225, v64                                    // 00000002DE68: 7FC20340
	v_cvt_pkrtz_f16_f32 v64, v228, v229                        // 00000002DE6C: D2960040 0003CBE4
	v_mov_b32_e32 v226, v64                                    // 00000002DE74: 7FC40340
	v_cvt_pkrtz_f16_f32 v64, v230, v231                        // 00000002DE78: D2960040 0003CFE6
	v_mov_b32_e32 v227, v64                                    // 00000002DE80: 7FC60340
	s_nop 1                                                    // 00000002DE84: BF800001
	v_lshrrev_b32_e32 v64, 4, v0                               // 00000002DE88: 20800084
	v_mul_i32_i24_e32 v68, 34, v64                             // 00000002DE8C: 0C8880A2
	v_and_b32_e32 v64, 15, v0                                  // 00000002DE90: 2680008F
	v_mul_i32_i24_e32 v65, 2, v64                              // 00000002DE94: 0C828082
	v_add_u32_e32 v68, v65, v68                                // 00000002DE98: 68888941
	s_mul_i32 s60, s7, 0x88                                    // 00000002DE9C: 923CFF07 00000088
	v_add_u32_e32 v68, s60, v68                                // 00000002DEA4: 6888883C
	v_lshlrev_b32_e32 v68, 2, v68                              // 00000002DEA8: 24888882
	ds_write_b64 v68, v[224:225] offset:41472                  // 00000002DEAC: D89AA200 0000E044
	ds_write_b64 v68, v[226:227] offset:43648                  // 00000002DEB4: D89AAA80 0000E244
	v_lshrrev_b32_e32 v64, 1, v0                               // 00000002DEBC: 20800081
	v_mul_i32_i24_e32 v68, 34, v64                             // 00000002DEC0: 0C8880A2
	v_and_b32_e32 v65, 1, v0                                   // 00000002DEC4: 26820081
	v_add_u32_e32 v68, v65, v68                                // 00000002DEC8: 68888941
	s_mul_i32 s60, s7, 2                                       // 00000002DECC: 923C8207
	v_add_u32_e32 v68, s60, v68                                // 00000002DED0: 6888883C
	v_lshlrev_b32_e32 v68, 2, v68                              // 00000002DED4: 24888882
	s_waitcnt lgkmcnt(0)                                       // 00000002DED8: BF8CC07F
	s_barrier                                                  // 00000002DEDC: BF8A0000
	ds_read_b32 v224, v68 offset:41472                         // 00000002DEE0: D86CA200 E0000044
	ds_read_b32 v225, v68 offset:41504                         // 00000002DEE8: D86CA220 E1000044
	ds_read_b32 v226, v68 offset:41536                         // 00000002DEF0: D86CA240 E2000044
	ds_read_b32 v227, v68 offset:41568                         // 00000002DEF8: D86CA260 E3000044
	s_mul_i32 s60, s7, 0x100                                   // 00000002DF00: 923CFF07 00000100
	v_lshlrev_b32_e32 v64, 2, v0                               // 00000002DF08: 24800082
	v_add_u32_e64 v64, v64, s60                                // 00000002DF0C: D1340040 00007940
	s_waitcnt lgkmcnt(0)                                       // 00000002DF14: BF8CC07F
	buffer_store_dword v224, v64, s[8:11], 0 offen             // 00000002DF18: E0701000 8002E040
	buffer_store_dword v225, v64, s[8:11], 0 offen offset:1024 // 00000002DF20: E0701400 8002E140
	buffer_store_dword v226, v64, s[8:11], 0 offen offset:2048 // 00000002DF28: E0701800 8002E240
	buffer_store_dword v227, v64, s[8:11], 0 offen offset:3072 // 00000002DF30: E0701C00 8002E340
	s_add_u32 s8, s75, s8                                      // 00000002DF38: 8008084B
	s_addc_u32 s9, 0, s9                                       // 00000002DF3C: 82090980
	v_mul_f32_e32 v232, v52, v232                              // 00000002DF40: 0BD1D134
	v_mul_f32_e32 v233, v52, v233                              // 00000002DF44: 0BD3D334
	v_mul_f32_e32 v234, v52, v234                              // 00000002DF48: 0BD5D534
	v_mul_f32_e32 v235, v52, v235                              // 00000002DF4C: 0BD7D734
	v_mul_f32_e32 v236, v52, v236                              // 00000002DF50: 0BD9D934
	v_mul_f32_e32 v237, v52, v237                              // 00000002DF54: 0BDBDB34
	v_mul_f32_e32 v238, v52, v238                              // 00000002DF58: 0BDDDD34
	v_mul_f32_e32 v239, v52, v239                              // 00000002DF5C: 0BDFDF34
	v_mul_f32_e32 v200, v47, v200                              // 00000002DF60: 0B91912F
	v_mul_f32_e32 v201, v47, v201                              // 00000002DF64: 0B93932F
	v_mul_f32_e32 v202, v47, v202                              // 00000002DF68: 0B95952F
	v_mul_f32_e32 v203, v47, v203                              // 00000002DF6C: 0B97972F
	v_mul_f32_e32 v204, v47, v204                              // 00000002DF70: 0B99992F
	v_mul_f32_e32 v205, v47, v205                              // 00000002DF74: 0B9B9B2F
	v_mul_f32_e32 v206, v47, v206                              // 00000002DF78: 0B9D9D2F
	v_mul_f32_e32 v207, v47, v207                              // 00000002DF7C: 0B9F9F2F
	v_add_f32_e32 v232, v232, v200                             // 00000002DF80: 03D191E8
	v_add_f32_e32 v233, v233, v201                             // 00000002DF84: 03D393E9
	v_add_f32_e32 v234, v234, v202                             // 00000002DF88: 03D595EA
	v_add_f32_e32 v235, v235, v203                             // 00000002DF8C: 03D797EB
	v_add_f32_e32 v236, v236, v204                             // 00000002DF90: 03D999EC
	v_add_f32_e32 v237, v237, v205                             // 00000002DF94: 03DB9BED
	v_add_f32_e32 v238, v238, v206                             // 00000002DF98: 03DD9DEE
	v_add_f32_e32 v239, v239, v207                             // 00000002DF9C: 03DF9FEF
	ds_write_b32 v8, v41 offset:16896                          // 00000002DFA0: D81A4200 00002908
	s_waitcnt lgkmcnt(0)                                       // 00000002DFA8: BF8CC07F
	s_barrier                                                  // 00000002DFAC: BF8A0000
	ds_read_b32 v64, v7 offset:16896                           // 00000002DFB0: D86C4200 40000007
	ds_read_b32 v65, v7 offset:16960                           // 00000002DFB8: D86C4240 41000007
	ds_read_b32 v66, v7 offset:17024                           // 00000002DFC0: D86C4280 42000007
	ds_read_b32 v67, v7 offset:17088                           // 00000002DFC8: D86C42C0 43000007
	ds_read_b32 v68, v7 offset:17152                           // 00000002DFD0: D86C4300 44000007
	ds_read_b32 v69, v7 offset:17216                           // 00000002DFD8: D86C4340 45000007
	ds_read_b32 v70, v7 offset:17280                           // 00000002DFE0: D86C4380 46000007
	ds_read_b32 v71, v7 offset:17344                           // 00000002DFE8: D86C43C0 47000007
	ds_read_b32 v72, v7 offset:17408                           // 00000002DFF0: D86C4400 48000007
	ds_read_b32 v73, v7 offset:17472                           // 00000002DFF8: D86C4440 49000007
	ds_read_b32 v74, v7 offset:17536                           // 00000002E000: D86C4480 4A000007
	ds_read_b32 v75, v7 offset:17600                           // 00000002E008: D86C44C0 4B000007
	ds_read_b32 v76, v7 offset:17664                           // 00000002E010: D86C4500 4C000007
	ds_read_b32 v77, v7 offset:17728                           // 00000002E018: D86C4540 4D000007
	ds_read_b32 v78, v7 offset:17792                           // 00000002E020: D86C4580 4E000007
	ds_read_b32 v79, v7 offset:17856                           // 00000002E028: D86C45C0 4F000007
	s_waitcnt lgkmcnt(0)                                       // 00000002E030: BF8CC07F
	v_mov_b32_e32 v41, 0                                       // 00000002E034: 7E520280
	v_add_f32_e32 v41, v64, v41                                // 00000002E038: 02525340
	v_add_f32_e32 v41, v65, v41                                // 00000002E03C: 02525341
	v_add_f32_e32 v41, v66, v41                                // 00000002E040: 02525342
	v_add_f32_e32 v41, v67, v41                                // 00000002E044: 02525343
	v_add_f32_e32 v41, v68, v41                                // 00000002E048: 02525344
	v_add_f32_e32 v41, v69, v41                                // 00000002E04C: 02525345
	v_add_f32_e32 v41, v70, v41                                // 00000002E050: 02525346
	v_add_f32_e32 v41, v71, v41                                // 00000002E054: 02525347
	v_add_f32_e32 v41, v72, v41                                // 00000002E058: 02525348
	v_add_f32_e32 v41, v73, v41                                // 00000002E05C: 02525349
	v_add_f32_e32 v41, v74, v41                                // 00000002E060: 0252534A
	v_add_f32_e32 v41, v75, v41                                // 00000002E064: 0252534B
	v_add_f32_e32 v41, v76, v41                                // 00000002E068: 0252534C
	v_add_f32_e32 v41, v77, v41                                // 00000002E06C: 0252534D
	v_add_f32_e32 v41, v78, v41                                // 00000002E070: 0252534E
	v_add_f32_e32 v41, v79, v41                                // 00000002E074: 0252534F
	s_nop 1                                                    // 00000002E078: BF800001
	v_rcp_f32_e32 v41, v41                                     // 00000002E07C: 7E524529
	s_nop 1                                                    // 00000002E080: BF800001
	v_mul_f32_e32 v232, v41, v232                              // 00000002E084: 0BD1D129
	v_mul_f32_e32 v233, v41, v233                              // 00000002E088: 0BD3D329
	v_mul_f32_e32 v234, v41, v234                              // 00000002E08C: 0BD5D529
	v_mul_f32_e32 v235, v41, v235                              // 00000002E090: 0BD7D729
	v_mul_f32_e32 v236, v41, v236                              // 00000002E094: 0BD9D929
	v_mul_f32_e32 v237, v41, v237                              // 00000002E098: 0BDBDB29
	v_mul_f32_e32 v238, v41, v238                              // 00000002E09C: 0BDDDD29
	v_mul_f32_e32 v239, v41, v239                              // 00000002E0A0: 0BDFDF29
	v_mov_b32_e32 v19, 0xffff0000                              // 00000002E0A4: 7E2602FF FFFF0000
	v_mov_b32_e32 v20, 0x7fff0000                              // 00000002E0AC: 7E2802FF 7FFF0000
	v_mov_b32_e32 v21, 0x7fff                                  // 00000002E0B4: 7E2A02FF 00007FFF
	v_cvt_pkrtz_f16_f32 v64, v232, v233                        // 00000002E0BC: D2960040 0003D3E8
	v_mov_b32_e32 v232, v64                                    // 00000002E0C4: 7FD00340
	v_cvt_pkrtz_f16_f32 v64, v234, v235                        // 00000002E0C8: D2960040 0003D7EA
	v_mov_b32_e32 v233, v64                                    // 00000002E0D0: 7FD20340
	v_cvt_pkrtz_f16_f32 v64, v236, v237                        // 00000002E0D4: D2960040 0003DBEC
	v_mov_b32_e32 v234, v64                                    // 00000002E0DC: 7FD40340
	v_cvt_pkrtz_f16_f32 v64, v238, v239                        // 00000002E0E0: D2960040 0003DFEE
	v_mov_b32_e32 v235, v64                                    // 00000002E0E8: 7FD60340
	s_nop 1                                                    // 00000002E0EC: BF800001
	v_lshrrev_b32_e32 v64, 4, v0                               // 00000002E0F0: 20800084
	v_mul_i32_i24_e32 v68, 34, v64                             // 00000002E0F4: 0C8880A2
	v_and_b32_e32 v64, 15, v0                                  // 00000002E0F8: 2680008F
	v_mul_i32_i24_e32 v65, 2, v64                              // 00000002E0FC: 0C828082
	v_add_u32_e32 v68, v65, v68                                // 00000002E100: 68888941
	s_mul_i32 s60, s7, 0x88                                    // 00000002E104: 923CFF07 00000088
	v_add_u32_e32 v68, s60, v68                                // 00000002E10C: 6888883C
	v_lshlrev_b32_e32 v68, 2, v68                              // 00000002E110: 24888882
	ds_write_b64 v68, v[232:233] offset:41472                  // 00000002E114: D89AA200 0000E844
	ds_write_b64 v68, v[234:235] offset:43648                  // 00000002E11C: D89AAA80 0000EA44
	v_lshrrev_b32_e32 v64, 1, v0                               // 00000002E124: 20800081
	v_mul_i32_i24_e32 v68, 34, v64                             // 00000002E128: 0C8880A2
	v_and_b32_e32 v65, 1, v0                                   // 00000002E12C: 26820081
	v_add_u32_e32 v68, v65, v68                                // 00000002E130: 68888941
	s_mul_i32 s60, s7, 2                                       // 00000002E134: 923C8207
	v_add_u32_e32 v68, s60, v68                                // 00000002E138: 6888883C
	v_lshlrev_b32_e32 v68, 2, v68                              // 00000002E13C: 24888882
	s_waitcnt lgkmcnt(0)                                       // 00000002E140: BF8CC07F
	s_barrier                                                  // 00000002E144: BF8A0000
	ds_read_b32 v232, v68 offset:41472                         // 00000002E148: D86CA200 E8000044
	ds_read_b32 v233, v68 offset:41504                         // 00000002E150: D86CA220 E9000044
	ds_read_b32 v234, v68 offset:41536                         // 00000002E158: D86CA240 EA000044
	ds_read_b32 v235, v68 offset:41568                         // 00000002E160: D86CA260 EB000044
	s_mul_i32 s60, s7, 0x100                                   // 00000002E168: 923CFF07 00000100
	v_lshlrev_b32_e32 v64, 2, v0                               // 00000002E170: 24800082
	v_add_u32_e64 v64, v64, s60                                // 00000002E174: D1340040 00007940
	s_waitcnt lgkmcnt(0)                                       // 00000002E17C: BF8CC07F
	buffer_store_dword v232, v64, s[8:11], 0 offen             // 00000002E180: E0701000 8002E840
	buffer_store_dword v233, v64, s[8:11], 0 offen offset:1024 // 00000002E188: E0701400 8002E940
	buffer_store_dword v234, v64, s[8:11], 0 offen offset:2048 // 00000002E190: E0701800 8002EA40
	buffer_store_dword v235, v64, s[8:11], 0 offen offset:3072 // 00000002E198: E0701C00 8002EB40
	s_add_u32 s8, s75, s8                                      // 00000002E1A0: 8008084B
	s_addc_u32 s9, 0, s9                                       // 00000002E1A4: 82090980
	s_branch label_AFEB                                        // 00000002E1A8: BF820000

000000000002e1ac <label_AFEB>:
	s_waitcnt vmcnt(0) expcnt(0) lgkmcnt(0)                    // 00000002E1AC: BF8C0000
	s_endpgm                                                   // 00000002E1B0: BF810000
